;; amdgpu-corpus repo=ggml-org/llama.cpp kind=compiled arch=gfx90a opt=O3
	.text
	.amdgcn_target "amdgcn-amd-amdhsa--gfx90a"
	.amdhsa_code_object_version 6
	.section	.text._ZL10k_set_rowsIflfEvPKT_PKT0_PT1_llllllllllllll15HIP_vector_typeIjLj3EES9_S9_S9_S9_,"axG",@progbits,_ZL10k_set_rowsIflfEvPKT_PKT0_PT1_llllllllllllll15HIP_vector_typeIjLj3EES9_S9_S9_S9_,comdat
	.globl	_ZL10k_set_rowsIflfEvPKT_PKT0_PT1_llllllllllllll15HIP_vector_typeIjLj3EES9_S9_S9_S9_ ; -- Begin function _ZL10k_set_rowsIflfEvPKT_PKT0_PT1_llllllllllllll15HIP_vector_typeIjLj3EES9_S9_S9_S9_
	.p2align	8
	.type	_ZL10k_set_rowsIflfEvPKT_PKT0_PT1_llllllllllllll15HIP_vector_typeIjLj3EES9_S9_S9_S9_,@function
_ZL10k_set_rowsIflfEvPKT_PKT0_PT1_llllllllllllll15HIP_vector_typeIjLj3EES9_S9_S9_S9_: ; @_ZL10k_set_rowsIflfEvPKT_PKT0_PT1_llllllllllllll15HIP_vector_typeIjLj3EES9_S9_S9_S9_
; %bb.0:
	s_load_dword s0, s[4:5], 0xd4
	s_load_dwordx8 s[24:31], s[4:5], 0x0
	v_mov_b32_e32 v1, 0
	v_mov_b32_e32 v2, s6
	s_waitcnt lgkmcnt(0)
	s_and_b32 s0, s0, 0xffff
	v_mad_u64_u32 v[2:3], s[0:1], s0, v2, v[0:1]
	v_cmp_gt_i64_e32 vcc, s[30:31], v[2:3]
	s_and_saveexec_b64 s[0:1], vcc
	s_cbranch_execz .LBB0_2
; %bb.1:
	s_load_dwordx8 s[36:43], s[4:5], 0x88
	s_load_dwordx16 s[8:23], s[4:5], 0x40
	s_load_dword s30, s[4:5], 0xc0
	s_load_dwordx2 s[6:7], s[4:5], 0xb8
	s_load_dwordx4 s[0:3], s[4:5], 0xa8
	s_waitcnt lgkmcnt(0)
	v_mul_hi_u32 v0, v2, s36
	v_add_u32_e32 v0, v0, v2
	v_lshrrev_b32_e32 v3, s37, v0
	v_mul_lo_u32 v0, v3, s38
	v_sub_u32_e32 v0, v2, v0
	v_mul_hi_u32 v2, v3, s39
	v_add_u32_e32 v2, v3, v2
	v_lshrrev_b32_e32 v2, s40, v2
	v_mul_lo_u32 v4, v2, s41
	v_sub_u32_e32 v7, v3, v4
	;; [unrolled: 5-line block ×5, first 2 shown]
	v_mad_u64_u32 v[2:3], s[0:1], v7, s14, 0
	v_mov_b32_e32 v4, v3
	v_mad_u64_u32 v[4:5], s[0:1], v7, s15, v[4:5]
	v_mov_b32_e32 v3, v4
	v_lshlrev_b64 v[2:3], 3, v[2:3]
	v_mov_b32_e32 v4, s27
	v_add_co_u32_e32 v11, vcc, s26, v2
	v_addc_co_u32_e32 v12, vcc, v4, v3, vcc
	v_mad_u64_u32 v[2:3], s[0:1], v10, s16, 0
	v_mov_b32_e32 v4, v3
	v_mad_u64_u32 v[4:5], s[0:1], v10, s17, v[4:5]
	v_mov_b32_e32 v3, v4
	v_lshlrev_b64 v[2:3], 3, v[2:3]
	v_add_co_u32_e32 v10, vcc, v11, v2
	v_addc_co_u32_e32 v11, vcc, v12, v3, vcc
	v_mad_u64_u32 v[2:3], s[0:1], v6, s18, 0
	v_mov_b32_e32 v4, v3
	v_mad_u64_u32 v[4:5], s[0:1], v6, s19, v[4:5]
	v_mov_b32_e32 v3, v4
	v_lshlrev_b64 v[2:3], 3, v[2:3]
	v_add_co_u32_e32 v2, vcc, v10, v2
	v_mad_u64_u32 v[4:5], s[0:1], v7, s8, 0
	v_addc_co_u32_e32 v3, vcc, v11, v3, vcc
	v_mov_b32_e32 v6, v5
	global_load_dwordx2 v[2:3], v[2:3], off
	v_mad_u64_u32 v[6:7], s[0:1], v7, s9, v[6:7]
	v_mov_b32_e32 v5, v6
	v_lshlrev_b64 v[4:5], 2, v[4:5]
	v_mov_b32_e32 v6, s25
	v_add_co_u32_e32 v10, vcc, s24, v4
	v_addc_co_u32_e32 v11, vcc, v6, v5, vcc
	v_mad_u64_u32 v[4:5], s[0:1], v9, s10, 0
	v_mov_b32_e32 v6, v5
	v_mad_u64_u32 v[6:7], s[0:1], v9, s11, v[6:7]
	v_mov_b32_e32 v5, v6
	v_lshlrev_b64 v[4:5], 2, v[4:5]
	v_add_co_u32_e32 v10, vcc, v10, v4
	v_addc_co_u32_e32 v11, vcc, v11, v5, vcc
	v_mad_u64_u32 v[4:5], s[0:1], v8, s12, 0
	v_mov_b32_e32 v6, v5
	v_mad_u64_u32 v[6:7], s[0:1], v8, s13, v[6:7]
	v_mov_b32_e32 v5, v6
	v_lshlrev_b64 v[4:5], 2, v[4:5]
	v_add_co_u32_e32 v4, vcc, v10, v4
	v_addc_co_u32_e32 v5, vcc, v11, v5, vcc
	v_lshlrev_b64 v[0:1], 2, v[0:1]
	v_add_co_u32_e32 v4, vcc, v4, v0
	v_addc_co_u32_e32 v5, vcc, v5, v1, vcc
	global_load_dword v6, v[4:5], off
	s_load_dwordx2 s[0:1], s[4:5], 0x80
	s_waitcnt vmcnt(1)
	v_mul_lo_u32 v4, v3, s20
	v_mul_lo_u32 v5, v2, s21
	v_mad_u64_u32 v[2:3], s[2:3], v2, s20, 0
	v_add3_u32 v3, v3, v5, v4
	v_lshlrev_b64 v[2:3], 2, v[2:3]
	v_mov_b32_e32 v4, s29
	v_add_co_u32_e32 v7, vcc, s28, v2
	v_addc_co_u32_e32 v10, vcc, v4, v3, vcc
	v_mad_u64_u32 v[2:3], s[2:3], v9, s22, 0
	v_mov_b32_e32 v4, v3
	v_mad_u64_u32 v[4:5], s[2:3], v9, s23, v[4:5]
	v_mov_b32_e32 v3, v4
	v_lshlrev_b64 v[2:3], 2, v[2:3]
	v_add_co_u32_e32 v7, vcc, v7, v2
	v_addc_co_u32_e32 v9, vcc, v10, v3, vcc
	s_waitcnt lgkmcnt(0)
	v_mad_u64_u32 v[2:3], s[2:3], v8, s0, 0
	v_mov_b32_e32 v4, v3
	v_mad_u64_u32 v[4:5], s[0:1], v8, s1, v[4:5]
	v_mov_b32_e32 v3, v4
	v_lshlrev_b64 v[2:3], 2, v[2:3]
	v_add_co_u32_e32 v2, vcc, v7, v2
	v_addc_co_u32_e32 v3, vcc, v9, v3, vcc
	v_add_co_u32_e32 v0, vcc, v2, v0
	v_addc_co_u32_e32 v1, vcc, v3, v1, vcc
	s_waitcnt vmcnt(0)
	global_store_dword v[0:1], v6, off
.LBB0_2:
	s_endpgm
	.section	.rodata,"a",@progbits
	.p2align	6, 0x0
	.amdhsa_kernel _ZL10k_set_rowsIflfEvPKT_PKT0_PT1_llllllllllllll15HIP_vector_typeIjLj3EES9_S9_S9_S9_
		.amdhsa_group_segment_fixed_size 0
		.amdhsa_private_segment_fixed_size 0
		.amdhsa_kernarg_size 456
		.amdhsa_user_sgpr_count 6
		.amdhsa_user_sgpr_private_segment_buffer 1
		.amdhsa_user_sgpr_dispatch_ptr 0
		.amdhsa_user_sgpr_queue_ptr 0
		.amdhsa_user_sgpr_kernarg_segment_ptr 1
		.amdhsa_user_sgpr_dispatch_id 0
		.amdhsa_user_sgpr_flat_scratch_init 0
		.amdhsa_user_sgpr_kernarg_preload_length 0
		.amdhsa_user_sgpr_kernarg_preload_offset 0
		.amdhsa_user_sgpr_private_segment_size 0
		.amdhsa_uses_dynamic_stack 0
		.amdhsa_system_sgpr_private_segment_wavefront_offset 0
		.amdhsa_system_sgpr_workgroup_id_x 1
		.amdhsa_system_sgpr_workgroup_id_y 0
		.amdhsa_system_sgpr_workgroup_id_z 0
		.amdhsa_system_sgpr_workgroup_info 0
		.amdhsa_system_vgpr_workitem_id 0
		.amdhsa_next_free_vgpr 13
		.amdhsa_next_free_sgpr 44
		.amdhsa_accum_offset 16
		.amdhsa_reserve_vcc 1
		.amdhsa_reserve_flat_scratch 0
		.amdhsa_float_round_mode_32 0
		.amdhsa_float_round_mode_16_64 0
		.amdhsa_float_denorm_mode_32 3
		.amdhsa_float_denorm_mode_16_64 3
		.amdhsa_dx10_clamp 1
		.amdhsa_ieee_mode 1
		.amdhsa_fp16_overflow 0
		.amdhsa_tg_split 0
		.amdhsa_exception_fp_ieee_invalid_op 0
		.amdhsa_exception_fp_denorm_src 0
		.amdhsa_exception_fp_ieee_div_zero 0
		.amdhsa_exception_fp_ieee_overflow 0
		.amdhsa_exception_fp_ieee_underflow 0
		.amdhsa_exception_fp_ieee_inexact 0
		.amdhsa_exception_int_div_zero 0
	.end_amdhsa_kernel
	.section	.text._ZL10k_set_rowsIflfEvPKT_PKT0_PT1_llllllllllllll15HIP_vector_typeIjLj3EES9_S9_S9_S9_,"axG",@progbits,_ZL10k_set_rowsIflfEvPKT_PKT0_PT1_llllllllllllll15HIP_vector_typeIjLj3EES9_S9_S9_S9_,comdat
.Lfunc_end0:
	.size	_ZL10k_set_rowsIflfEvPKT_PKT0_PT1_llllllllllllll15HIP_vector_typeIjLj3EES9_S9_S9_S9_, .Lfunc_end0-_ZL10k_set_rowsIflfEvPKT_PKT0_PT1_llllllllllllll15HIP_vector_typeIjLj3EES9_S9_S9_S9_
                                        ; -- End function
	.section	.AMDGPU.csdata,"",@progbits
; Kernel info:
; codeLenInByte = 692
; NumSgprs: 48
; NumVgprs: 13
; NumAgprs: 0
; TotalNumVgprs: 13
; ScratchSize: 0
; MemoryBound: 0
; FloatMode: 240
; IeeeMode: 1
; LDSByteSize: 0 bytes/workgroup (compile time only)
; SGPRBlocks: 5
; VGPRBlocks: 1
; NumSGPRsForWavesPerEU: 48
; NumVGPRsForWavesPerEU: 13
; AccumOffset: 16
; Occupancy: 8
; WaveLimiterHint : 1
; COMPUTE_PGM_RSRC2:SCRATCH_EN: 0
; COMPUTE_PGM_RSRC2:USER_SGPR: 6
; COMPUTE_PGM_RSRC2:TRAP_HANDLER: 0
; COMPUTE_PGM_RSRC2:TGID_X_EN: 1
; COMPUTE_PGM_RSRC2:TGID_Y_EN: 0
; COMPUTE_PGM_RSRC2:TGID_Z_EN: 0
; COMPUTE_PGM_RSRC2:TIDIG_COMP_CNT: 0
; COMPUTE_PGM_RSRC3_GFX90A:ACCUM_OFFSET: 3
; COMPUTE_PGM_RSRC3_GFX90A:TG_SPLIT: 0
	.section	.text._ZL10k_set_rowsIfl6__halfEvPKT_PKT0_PT1_llllllllllllll15HIP_vector_typeIjLj3EESA_SA_SA_SA_,"axG",@progbits,_ZL10k_set_rowsIfl6__halfEvPKT_PKT0_PT1_llllllllllllll15HIP_vector_typeIjLj3EESA_SA_SA_SA_,comdat
	.globl	_ZL10k_set_rowsIfl6__halfEvPKT_PKT0_PT1_llllllllllllll15HIP_vector_typeIjLj3EESA_SA_SA_SA_ ; -- Begin function _ZL10k_set_rowsIfl6__halfEvPKT_PKT0_PT1_llllllllllllll15HIP_vector_typeIjLj3EESA_SA_SA_SA_
	.p2align	8
	.type	_ZL10k_set_rowsIfl6__halfEvPKT_PKT0_PT1_llllllllllllll15HIP_vector_typeIjLj3EESA_SA_SA_SA_,@function
_ZL10k_set_rowsIfl6__halfEvPKT_PKT0_PT1_llllllllllllll15HIP_vector_typeIjLj3EESA_SA_SA_SA_: ; @_ZL10k_set_rowsIfl6__halfEvPKT_PKT0_PT1_llllllllllllll15HIP_vector_typeIjLj3EESA_SA_SA_SA_
; %bb.0:
	s_load_dword s0, s[4:5], 0xd4
	s_load_dwordx8 s[24:31], s[4:5], 0x0
	v_mov_b32_e32 v1, 0
	v_mov_b32_e32 v2, s6
	s_waitcnt lgkmcnt(0)
	s_and_b32 s0, s0, 0xffff
	v_mad_u64_u32 v[2:3], s[0:1], s0, v2, v[0:1]
	v_cmp_gt_i64_e32 vcc, s[30:31], v[2:3]
	s_and_saveexec_b64 s[0:1], vcc
	s_cbranch_execz .LBB1_2
; %bb.1:
	s_load_dwordx8 s[36:43], s[4:5], 0x88
	s_load_dwordx16 s[8:23], s[4:5], 0x40
	s_load_dword s30, s[4:5], 0xc0
	s_load_dwordx2 s[6:7], s[4:5], 0xb8
	s_load_dwordx4 s[0:3], s[4:5], 0xa8
	s_waitcnt lgkmcnt(0)
	v_mul_hi_u32 v0, v2, s36
	v_add_u32_e32 v0, v0, v2
	v_lshrrev_b32_e32 v3, s37, v0
	v_mul_lo_u32 v0, v3, s38
	v_sub_u32_e32 v0, v2, v0
	v_mul_hi_u32 v2, v3, s39
	v_add_u32_e32 v2, v3, v2
	v_lshrrev_b32_e32 v2, s40, v2
	v_mul_lo_u32 v4, v2, s41
	v_sub_u32_e32 v7, v3, v4
	;; [unrolled: 5-line block ×5, first 2 shown]
	v_mad_u64_u32 v[2:3], s[0:1], v7, s14, 0
	v_mov_b32_e32 v4, v3
	v_mad_u64_u32 v[4:5], s[0:1], v7, s15, v[4:5]
	v_mov_b32_e32 v3, v4
	v_lshlrev_b64 v[2:3], 3, v[2:3]
	v_mov_b32_e32 v4, s27
	v_add_co_u32_e32 v11, vcc, s26, v2
	v_addc_co_u32_e32 v12, vcc, v4, v3, vcc
	v_mad_u64_u32 v[2:3], s[0:1], v10, s16, 0
	v_mov_b32_e32 v4, v3
	v_mad_u64_u32 v[4:5], s[0:1], v10, s17, v[4:5]
	v_mov_b32_e32 v3, v4
	v_lshlrev_b64 v[2:3], 3, v[2:3]
	v_add_co_u32_e32 v10, vcc, v11, v2
	v_addc_co_u32_e32 v11, vcc, v12, v3, vcc
	v_mad_u64_u32 v[2:3], s[0:1], v6, s18, 0
	v_mov_b32_e32 v4, v3
	v_mad_u64_u32 v[4:5], s[0:1], v6, s19, v[4:5]
	v_mov_b32_e32 v3, v4
	;; [unrolled: 2-line block ×3, first 2 shown]
	v_lshlrev_b64 v[2:3], 3, v[2:3]
	v_mad_u64_u32 v[6:7], s[0:1], v7, s9, v[6:7]
	v_add_co_u32_e32 v2, vcc, v10, v2
	v_mov_b32_e32 v5, v6
	v_addc_co_u32_e32 v3, vcc, v11, v3, vcc
	v_lshlrev_b64 v[4:5], 2, v[4:5]
	v_mov_b32_e32 v6, s25
	v_add_co_u32_e32 v10, vcc, s24, v4
	global_load_dwordx2 v[2:3], v[2:3], off
	v_addc_co_u32_e32 v11, vcc, v6, v5, vcc
	v_mad_u64_u32 v[4:5], s[0:1], v9, s10, 0
	v_mov_b32_e32 v6, v5
	v_mad_u64_u32 v[6:7], s[0:1], v9, s11, v[6:7]
	v_mov_b32_e32 v5, v6
	v_lshlrev_b64 v[4:5], 2, v[4:5]
	v_add_co_u32_e32 v10, vcc, v10, v4
	v_addc_co_u32_e32 v11, vcc, v11, v5, vcc
	v_mad_u64_u32 v[4:5], s[0:1], v8, s12, 0
	v_mov_b32_e32 v6, v5
	v_mad_u64_u32 v[6:7], s[0:1], v8, s13, v[6:7]
	v_mov_b32_e32 v5, v6
	v_lshlrev_b64 v[4:5], 2, v[4:5]
	v_add_co_u32_e32 v6, vcc, v10, v4
	v_addc_co_u32_e32 v7, vcc, v11, v5, vcc
	v_lshlrev_b64 v[4:5], 2, v[0:1]
	v_add_co_u32_e32 v4, vcc, v6, v4
	v_addc_co_u32_e32 v5, vcc, v7, v5, vcc
	global_load_dword v6, v[4:5], off
	s_load_dwordx2 s[0:1], s[4:5], 0x80
	v_lshlrev_b64 v[0:1], 1, v[0:1]
	s_waitcnt vmcnt(1)
	v_mul_lo_u32 v4, v3, s20
	v_mul_lo_u32 v5, v2, s21
	v_mad_u64_u32 v[2:3], s[2:3], v2, s20, 0
	v_add3_u32 v3, v3, v5, v4
	v_lshlrev_b64 v[2:3], 1, v[2:3]
	v_mov_b32_e32 v4, s29
	v_add_co_u32_e32 v7, vcc, s28, v2
	v_addc_co_u32_e32 v10, vcc, v4, v3, vcc
	v_mad_u64_u32 v[2:3], s[2:3], v9, s22, 0
	v_mov_b32_e32 v4, v3
	v_mad_u64_u32 v[4:5], s[2:3], v9, s23, v[4:5]
	v_mov_b32_e32 v3, v4
	v_lshlrev_b64 v[2:3], 1, v[2:3]
	v_add_co_u32_e32 v7, vcc, v7, v2
	v_addc_co_u32_e32 v9, vcc, v10, v3, vcc
	s_waitcnt lgkmcnt(0)
	v_mad_u64_u32 v[2:3], s[2:3], v8, s0, 0
	v_mov_b32_e32 v4, v3
	v_mad_u64_u32 v[4:5], s[0:1], v8, s1, v[4:5]
	v_mov_b32_e32 v3, v4
	v_lshlrev_b64 v[2:3], 1, v[2:3]
	v_add_co_u32_e32 v2, vcc, v7, v2
	s_waitcnt vmcnt(0)
	v_cvt_f16_f32_e32 v4, v6
	v_addc_co_u32_e32 v3, vcc, v9, v3, vcc
	v_add_co_u32_e32 v0, vcc, v2, v0
	v_addc_co_u32_e32 v1, vcc, v3, v1, vcc
	global_store_short v[0:1], v4, off
.LBB1_2:
	s_endpgm
	.section	.rodata,"a",@progbits
	.p2align	6, 0x0
	.amdhsa_kernel _ZL10k_set_rowsIfl6__halfEvPKT_PKT0_PT1_llllllllllllll15HIP_vector_typeIjLj3EESA_SA_SA_SA_
		.amdhsa_group_segment_fixed_size 0
		.amdhsa_private_segment_fixed_size 0
		.amdhsa_kernarg_size 456
		.amdhsa_user_sgpr_count 6
		.amdhsa_user_sgpr_private_segment_buffer 1
		.amdhsa_user_sgpr_dispatch_ptr 0
		.amdhsa_user_sgpr_queue_ptr 0
		.amdhsa_user_sgpr_kernarg_segment_ptr 1
		.amdhsa_user_sgpr_dispatch_id 0
		.amdhsa_user_sgpr_flat_scratch_init 0
		.amdhsa_user_sgpr_kernarg_preload_length 0
		.amdhsa_user_sgpr_kernarg_preload_offset 0
		.amdhsa_user_sgpr_private_segment_size 0
		.amdhsa_uses_dynamic_stack 0
		.amdhsa_system_sgpr_private_segment_wavefront_offset 0
		.amdhsa_system_sgpr_workgroup_id_x 1
		.amdhsa_system_sgpr_workgroup_id_y 0
		.amdhsa_system_sgpr_workgroup_id_z 0
		.amdhsa_system_sgpr_workgroup_info 0
		.amdhsa_system_vgpr_workitem_id 0
		.amdhsa_next_free_vgpr 13
		.amdhsa_next_free_sgpr 44
		.amdhsa_accum_offset 16
		.amdhsa_reserve_vcc 1
		.amdhsa_reserve_flat_scratch 0
		.amdhsa_float_round_mode_32 0
		.amdhsa_float_round_mode_16_64 0
		.amdhsa_float_denorm_mode_32 3
		.amdhsa_float_denorm_mode_16_64 3
		.amdhsa_dx10_clamp 1
		.amdhsa_ieee_mode 1
		.amdhsa_fp16_overflow 0
		.amdhsa_tg_split 0
		.amdhsa_exception_fp_ieee_invalid_op 0
		.amdhsa_exception_fp_denorm_src 0
		.amdhsa_exception_fp_ieee_div_zero 0
		.amdhsa_exception_fp_ieee_overflow 0
		.amdhsa_exception_fp_ieee_underflow 0
		.amdhsa_exception_fp_ieee_inexact 0
		.amdhsa_exception_int_div_zero 0
	.end_amdhsa_kernel
	.section	.text._ZL10k_set_rowsIfl6__halfEvPKT_PKT0_PT1_llllllllllllll15HIP_vector_typeIjLj3EESA_SA_SA_SA_,"axG",@progbits,_ZL10k_set_rowsIfl6__halfEvPKT_PKT0_PT1_llllllllllllll15HIP_vector_typeIjLj3EESA_SA_SA_SA_,comdat
.Lfunc_end1:
	.size	_ZL10k_set_rowsIfl6__halfEvPKT_PKT0_PT1_llllllllllllll15HIP_vector_typeIjLj3EESA_SA_SA_SA_, .Lfunc_end1-_ZL10k_set_rowsIfl6__halfEvPKT_PKT0_PT1_llllllllllllll15HIP_vector_typeIjLj3EESA_SA_SA_SA_
                                        ; -- End function
	.section	.AMDGPU.csdata,"",@progbits
; Kernel info:
; codeLenInByte = 704
; NumSgprs: 48
; NumVgprs: 13
; NumAgprs: 0
; TotalNumVgprs: 13
; ScratchSize: 0
; MemoryBound: 0
; FloatMode: 240
; IeeeMode: 1
; LDSByteSize: 0 bytes/workgroup (compile time only)
; SGPRBlocks: 5
; VGPRBlocks: 1
; NumSGPRsForWavesPerEU: 48
; NumVGPRsForWavesPerEU: 13
; AccumOffset: 16
; Occupancy: 8
; WaveLimiterHint : 1
; COMPUTE_PGM_RSRC2:SCRATCH_EN: 0
; COMPUTE_PGM_RSRC2:USER_SGPR: 6
; COMPUTE_PGM_RSRC2:TRAP_HANDLER: 0
; COMPUTE_PGM_RSRC2:TGID_X_EN: 1
; COMPUTE_PGM_RSRC2:TGID_Y_EN: 0
; COMPUTE_PGM_RSRC2:TGID_Z_EN: 0
; COMPUTE_PGM_RSRC2:TIDIG_COMP_CNT: 0
; COMPUTE_PGM_RSRC3_GFX90A:ACCUM_OFFSET: 3
; COMPUTE_PGM_RSRC3_GFX90A:TG_SPLIT: 0
	.section	.text._ZL10k_set_rowsIfl14__hip_bfloat16EvPKT_PKT0_PT1_llllllllllllll15HIP_vector_typeIjLj3EESA_SA_SA_SA_,"axG",@progbits,_ZL10k_set_rowsIfl14__hip_bfloat16EvPKT_PKT0_PT1_llllllllllllll15HIP_vector_typeIjLj3EESA_SA_SA_SA_,comdat
	.globl	_ZL10k_set_rowsIfl14__hip_bfloat16EvPKT_PKT0_PT1_llllllllllllll15HIP_vector_typeIjLj3EESA_SA_SA_SA_ ; -- Begin function _ZL10k_set_rowsIfl14__hip_bfloat16EvPKT_PKT0_PT1_llllllllllllll15HIP_vector_typeIjLj3EESA_SA_SA_SA_
	.p2align	8
	.type	_ZL10k_set_rowsIfl14__hip_bfloat16EvPKT_PKT0_PT1_llllllllllllll15HIP_vector_typeIjLj3EESA_SA_SA_SA_,@function
_ZL10k_set_rowsIfl14__hip_bfloat16EvPKT_PKT0_PT1_llllllllllllll15HIP_vector_typeIjLj3EESA_SA_SA_SA_: ; @_ZL10k_set_rowsIfl14__hip_bfloat16EvPKT_PKT0_PT1_llllllllllllll15HIP_vector_typeIjLj3EESA_SA_SA_SA_
; %bb.0:
	s_load_dword s0, s[4:5], 0xd4
	s_load_dwordx8 s[24:31], s[4:5], 0x0
	v_mov_b32_e32 v1, 0
	v_mov_b32_e32 v2, s6
	s_waitcnt lgkmcnt(0)
	s_and_b32 s0, s0, 0xffff
	v_mad_u64_u32 v[2:3], s[0:1], s0, v2, v[0:1]
	v_cmp_gt_i64_e32 vcc, s[30:31], v[2:3]
	s_and_saveexec_b64 s[0:1], vcc
	s_cbranch_execz .LBB2_6
; %bb.1:
	s_load_dwordx8 s[36:43], s[4:5], 0x88
	s_load_dwordx16 s[8:23], s[4:5], 0x40
	s_load_dword s30, s[4:5], 0xc0
	s_load_dwordx2 s[6:7], s[4:5], 0xb8
	s_load_dwordx4 s[0:3], s[4:5], 0xa8
	s_waitcnt lgkmcnt(0)
	v_mul_hi_u32 v0, v2, s36
	v_add_u32_e32 v0, v0, v2
	v_lshrrev_b32_e32 v3, s37, v0
	v_mul_lo_u32 v0, v3, s38
	v_sub_u32_e32 v0, v2, v0
	v_mul_hi_u32 v2, v3, s39
	v_add_u32_e32 v2, v3, v2
	v_lshrrev_b32_e32 v2, s40, v2
	v_mul_lo_u32 v4, v2, s41
	v_sub_u32_e32 v9, v3, v4
	;; [unrolled: 5-line block ×5, first 2 shown]
	v_mad_u64_u32 v[2:3], s[0:1], v9, s14, 0
	v_mov_b32_e32 v6, v3
	v_mad_u64_u32 v[6:7], s[0:1], v9, s15, v[6:7]
	v_mov_b32_e32 v3, v6
	v_lshlrev_b64 v[2:3], 3, v[2:3]
	v_mov_b32_e32 v6, s27
	v_add_co_u32_e32 v11, vcc, s26, v2
	v_addc_co_u32_e32 v12, vcc, v6, v3, vcc
	v_mad_u64_u32 v[2:3], s[0:1], v10, s16, 0
	v_mov_b32_e32 v6, v3
	v_mad_u64_u32 v[6:7], s[0:1], v10, s17, v[6:7]
	v_mov_b32_e32 v3, v6
	v_lshlrev_b64 v[2:3], 3, v[2:3]
	v_add_co_u32_e32 v10, vcc, v11, v2
	v_addc_co_u32_e32 v11, vcc, v12, v3, vcc
	v_mad_u64_u32 v[2:3], s[0:1], v8, s18, 0
	v_mov_b32_e32 v6, v3
	v_mad_u64_u32 v[6:7], s[0:1], v8, s19, v[6:7]
	v_mov_b32_e32 v3, v6
	;; [unrolled: 2-line block ×4, first 2 shown]
	v_lshlrev_b64 v[6:7], 2, v[6:7]
	v_mov_b32_e32 v8, s25
	v_add_co_u32_e32 v12, vcc, s24, v6
	v_addc_co_u32_e32 v13, vcc, v8, v7, vcc
	v_mad_u64_u32 v[6:7], s[0:1], v5, s10, 0
	v_mov_b32_e32 v8, v7
	v_mad_u64_u32 v[8:9], s[0:1], v5, s11, v[8:9]
	v_mov_b32_e32 v7, v8
	v_lshlrev_b64 v[6:7], 2, v[6:7]
	v_add_co_u32_e32 v12, vcc, v12, v6
	v_addc_co_u32_e32 v13, vcc, v13, v7, vcc
	v_mad_u64_u32 v[6:7], s[0:1], v4, s12, 0
	v_mov_b32_e32 v8, v7
	v_mad_u64_u32 v[8:9], s[0:1], v4, s13, v[8:9]
	v_mov_b32_e32 v7, v8
	v_lshlrev_b64 v[6:7], 2, v[6:7]
	v_add_co_u32_e32 v8, vcc, v12, v6
	v_addc_co_u32_e32 v9, vcc, v13, v7, vcc
	v_lshlrev_b64 v[6:7], 2, v[0:1]
	v_add_co_u32_e32 v6, vcc, v8, v6
	v_lshlrev_b64 v[2:3], 3, v[2:3]
	v_addc_co_u32_e32 v7, vcc, v9, v7, vcc
	global_load_dword v7, v[6:7], off
	v_add_co_u32_e32 v2, vcc, v10, v2
	v_addc_co_u32_e32 v3, vcc, v11, v3, vcc
	global_load_dwordx2 v[2:3], v[2:3], off
	s_mov_b32 s0, 0x7f800000
	s_waitcnt vmcnt(1)
	v_and_b32_e32 v6, 0x7f800000, v7
	v_cmp_ne_u32_e32 vcc, s0, v6
                                        ; implicit-def: $vgpr6
	s_and_saveexec_b64 s[0:1], vcc
	s_xor_b64 s[0:1], exec, s[0:1]
; %bb.2:
	v_bfe_u32 v6, v7, 16, 1
	s_movk_i32 s2, 0x7fff
	v_add3_u32 v6, v7, v6, s2
                                        ; implicit-def: $vgpr7
; %bb.3:
	s_andn2_saveexec_b64 s[0:1], s[0:1]
; %bb.4:
	v_mov_b32_e32 v6, 0
	v_or_b32_e32 v8, 0x10000, v7
	v_cmp_eq_u32_sdwa vcc, v7, v6 src0_sel:WORD_0 src1_sel:DWORD
	v_cndmask_b32_e32 v6, v8, v7, vcc
; %bb.5:
	s_or_b64 exec, exec, s[0:1]
	s_waitcnt vmcnt(0)
	v_mul_lo_u32 v7, v3, s20
	v_mul_lo_u32 v8, v2, s21
	v_mad_u64_u32 v[2:3], s[2:3], v2, s20, 0
	v_add3_u32 v3, v3, v8, v7
	v_lshlrev_b64 v[2:3], 1, v[2:3]
	v_mov_b32_e32 v7, s29
	v_add_co_u32_e32 v10, vcc, s28, v2
	v_addc_co_u32_e32 v7, vcc, v7, v3, vcc
	v_mad_u64_u32 v[2:3], s[2:3], v5, s22, 0
	s_load_dwordx2 s[0:1], s[4:5], 0x80
	v_mov_b32_e32 v8, v3
	v_mad_u64_u32 v[8:9], s[2:3], v5, s23, v[8:9]
	v_mov_b32_e32 v3, v8
	v_lshlrev_b64 v[2:3], 1, v[2:3]
	v_add_co_u32_e32 v9, vcc, v10, v2
	v_addc_co_u32_e32 v7, vcc, v7, v3, vcc
	s_waitcnt lgkmcnt(0)
	v_mad_u64_u32 v[2:3], s[2:3], v4, s0, 0
	v_mov_b32_e32 v8, v3
	v_mad_u64_u32 v[4:5], s[0:1], v4, s1, v[8:9]
	v_mov_b32_e32 v3, v4
	v_lshlrev_b64 v[2:3], 1, v[2:3]
	v_add_co_u32_e32 v2, vcc, v9, v2
	v_addc_co_u32_e32 v3, vcc, v7, v3, vcc
	v_lshlrev_b64 v[0:1], 1, v[0:1]
	v_add_co_u32_e32 v0, vcc, v2, v0
	v_addc_co_u32_e32 v1, vcc, v3, v1, vcc
	global_store_short_d16_hi v[0:1], v6, off
.LBB2_6:
	s_endpgm
	.section	.rodata,"a",@progbits
	.p2align	6, 0x0
	.amdhsa_kernel _ZL10k_set_rowsIfl14__hip_bfloat16EvPKT_PKT0_PT1_llllllllllllll15HIP_vector_typeIjLj3EESA_SA_SA_SA_
		.amdhsa_group_segment_fixed_size 0
		.amdhsa_private_segment_fixed_size 0
		.amdhsa_kernarg_size 456
		.amdhsa_user_sgpr_count 6
		.amdhsa_user_sgpr_private_segment_buffer 1
		.amdhsa_user_sgpr_dispatch_ptr 0
		.amdhsa_user_sgpr_queue_ptr 0
		.amdhsa_user_sgpr_kernarg_segment_ptr 1
		.amdhsa_user_sgpr_dispatch_id 0
		.amdhsa_user_sgpr_flat_scratch_init 0
		.amdhsa_user_sgpr_kernarg_preload_length 0
		.amdhsa_user_sgpr_kernarg_preload_offset 0
		.amdhsa_user_sgpr_private_segment_size 0
		.amdhsa_uses_dynamic_stack 0
		.amdhsa_system_sgpr_private_segment_wavefront_offset 0
		.amdhsa_system_sgpr_workgroup_id_x 1
		.amdhsa_system_sgpr_workgroup_id_y 0
		.amdhsa_system_sgpr_workgroup_id_z 0
		.amdhsa_system_sgpr_workgroup_info 0
		.amdhsa_system_vgpr_workitem_id 0
		.amdhsa_next_free_vgpr 14
		.amdhsa_next_free_sgpr 44
		.amdhsa_accum_offset 16
		.amdhsa_reserve_vcc 1
		.amdhsa_reserve_flat_scratch 0
		.amdhsa_float_round_mode_32 0
		.amdhsa_float_round_mode_16_64 0
		.amdhsa_float_denorm_mode_32 3
		.amdhsa_float_denorm_mode_16_64 3
		.amdhsa_dx10_clamp 1
		.amdhsa_ieee_mode 1
		.amdhsa_fp16_overflow 0
		.amdhsa_tg_split 0
		.amdhsa_exception_fp_ieee_invalid_op 0
		.amdhsa_exception_fp_denorm_src 0
		.amdhsa_exception_fp_ieee_div_zero 0
		.amdhsa_exception_fp_ieee_overflow 0
		.amdhsa_exception_fp_ieee_underflow 0
		.amdhsa_exception_fp_ieee_inexact 0
		.amdhsa_exception_int_div_zero 0
	.end_amdhsa_kernel
	.section	.text._ZL10k_set_rowsIfl14__hip_bfloat16EvPKT_PKT0_PT1_llllllllllllll15HIP_vector_typeIjLj3EESA_SA_SA_SA_,"axG",@progbits,_ZL10k_set_rowsIfl14__hip_bfloat16EvPKT_PKT0_PT1_llllllllllllll15HIP_vector_typeIjLj3EESA_SA_SA_SA_,comdat
.Lfunc_end2:
	.size	_ZL10k_set_rowsIfl14__hip_bfloat16EvPKT_PKT0_PT1_llllllllllllll15HIP_vector_typeIjLj3EESA_SA_SA_SA_, .Lfunc_end2-_ZL10k_set_rowsIfl14__hip_bfloat16EvPKT_PKT0_PT1_llllllllllllll15HIP_vector_typeIjLj3EESA_SA_SA_SA_
                                        ; -- End function
	.section	.AMDGPU.csdata,"",@progbits
; Kernel info:
; codeLenInByte = 780
; NumSgprs: 48
; NumVgprs: 14
; NumAgprs: 0
; TotalNumVgprs: 14
; ScratchSize: 0
; MemoryBound: 0
; FloatMode: 240
; IeeeMode: 1
; LDSByteSize: 0 bytes/workgroup (compile time only)
; SGPRBlocks: 5
; VGPRBlocks: 1
; NumSGPRsForWavesPerEU: 48
; NumVGPRsForWavesPerEU: 14
; AccumOffset: 16
; Occupancy: 8
; WaveLimiterHint : 1
; COMPUTE_PGM_RSRC2:SCRATCH_EN: 0
; COMPUTE_PGM_RSRC2:USER_SGPR: 6
; COMPUTE_PGM_RSRC2:TRAP_HANDLER: 0
; COMPUTE_PGM_RSRC2:TGID_X_EN: 1
; COMPUTE_PGM_RSRC2:TGID_Y_EN: 0
; COMPUTE_PGM_RSRC2:TGID_Z_EN: 0
; COMPUTE_PGM_RSRC2:TIDIG_COMP_CNT: 0
; COMPUTE_PGM_RSRC3_GFX90A:ACCUM_OFFSET: 3
; COMPUTE_PGM_RSRC3_GFX90A:TG_SPLIT: 0
	.section	.text._ZL16k_set_rows_quantIl10block_q4_0Li32ETnPFvPKfPT0_EXadL_ZL23quantize_f32_q4_0_blockS2_PS0_EEEvS2_PKT_S4_llllllllllllll15HIP_vector_typeIjLj3EESC_SC_SC_SC_,"axG",@progbits,_ZL16k_set_rows_quantIl10block_q4_0Li32ETnPFvPKfPT0_EXadL_ZL23quantize_f32_q4_0_blockS2_PS0_EEEvS2_PKT_S4_llllllllllllll15HIP_vector_typeIjLj3EESC_SC_SC_SC_,comdat
	.globl	_ZL16k_set_rows_quantIl10block_q4_0Li32ETnPFvPKfPT0_EXadL_ZL23quantize_f32_q4_0_blockS2_PS0_EEEvS2_PKT_S4_llllllllllllll15HIP_vector_typeIjLj3EESC_SC_SC_SC_ ; -- Begin function _ZL16k_set_rows_quantIl10block_q4_0Li32ETnPFvPKfPT0_EXadL_ZL23quantize_f32_q4_0_blockS2_PS0_EEEvS2_PKT_S4_llllllllllllll15HIP_vector_typeIjLj3EESC_SC_SC_SC_
	.p2align	8
	.type	_ZL16k_set_rows_quantIl10block_q4_0Li32ETnPFvPKfPT0_EXadL_ZL23quantize_f32_q4_0_blockS2_PS0_EEEvS2_PKT_S4_llllllllllllll15HIP_vector_typeIjLj3EESC_SC_SC_SC_,@function
_ZL16k_set_rows_quantIl10block_q4_0Li32ETnPFvPKfPT0_EXadL_ZL23quantize_f32_q4_0_blockS2_PS0_EEEvS2_PKT_S4_llllllllllllll15HIP_vector_typeIjLj3EESC_SC_SC_SC_: ; @_ZL16k_set_rows_quantIl10block_q4_0Li32ETnPFvPKfPT0_EXadL_ZL23quantize_f32_q4_0_blockS2_PS0_EEEvS2_PKT_S4_llllllllllllll15HIP_vector_typeIjLj3EESC_SC_SC_SC_
; %bb.0:
	s_load_dword s2, s[4:5], 0xd4
	s_load_dwordx2 s[0:1], s[4:5], 0x18
	v_mov_b32_e32 v1, 0
	v_mov_b32_e32 v2, s6
	s_waitcnt lgkmcnt(0)
	s_and_b32 s2, s2, 0xffff
	v_mad_u64_u32 v[2:3], s[2:3], s2, v2, v[0:1]
	v_cmp_gt_i64_e32 vcc, s[0:1], v[2:3]
	s_and_saveexec_b64 s[0:1], vcc
	s_cbranch_execz .LBB3_2
; %bb.1:
	s_load_dwordx4 s[0:3], s[4:5], 0x0
	s_load_dwordx2 s[6:7], s[4:5], 0x10
	s_load_dwordx16 s[8:23], s[4:5], 0x40
	s_load_dwordx8 s[24:31], s[4:5], 0x88
	s_load_dword s33, s[4:5], 0xc0
	s_load_dwordx2 s[34:35], s[4:5], 0xb8
	s_load_dwordx4 s[36:39], s[4:5], 0xa8
	v_lshlrev_b32_e32 v6, 5, v2
	s_waitcnt lgkmcnt(0)
	v_mul_hi_u32 v0, s24, v6
	v_add_u32_e32 v0, v6, v0
	v_lshrrev_b32_e32 v7, s25, v0
	v_mul_hi_u32 v0, v7, s27
	v_add_u32_e32 v0, v7, v0
	v_lshrrev_b32_e32 v0, s28, v0
	v_mul_lo_u32 v2, v0, s29
	v_sub_u32_e32 v10, v7, v2
	v_mul_hi_u32 v2, v0, s30
	v_add_u32_e32 v2, v0, v2
	v_lshrrev_b32_e32 v13, s31, v2
	v_mul_lo_u32 v2, v13, s36
	v_sub_u32_e32 v14, v0, v2
	;; [unrolled: 5-line block ×3, first 2 shown]
	v_mul_hi_u32 v0, v14, s37
	v_add_u32_e32 v0, v14, v0
	v_lshrrev_b32_e32 v0, s38, v0
	v_mul_lo_u32 v0, v0, s39
	v_mad_u64_u32 v[2:3], s[24:25], v10, s14, 0
	v_sub_u32_e32 v9, v14, v0
	v_mov_b32_e32 v0, v3
	v_mad_u64_u32 v[4:5], s[14:15], v10, s15, v[0:1]
	v_mov_b32_e32 v3, v4
	v_lshlrev_b64 v[2:3], 3, v[2:3]
	v_mov_b32_e32 v0, s3
	v_add_co_u32_e32 v11, vcc, s2, v2
	v_addc_co_u32_e32 v12, vcc, v0, v3, vcc
	v_mad_u64_u32 v[2:3], s[2:3], v9, s16, 0
	v_mov_b32_e32 v0, v3
	v_mad_u64_u32 v[4:5], s[2:3], v9, s17, v[0:1]
	v_mov_b32_e32 v3, v4
	v_lshlrev_b64 v[2:3], 3, v[2:3]
	v_add_co_u32_e32 v9, vcc, v11, v2
	v_addc_co_u32_e32 v11, vcc, v12, v3, vcc
	v_mad_u64_u32 v[2:3], s[2:3], v8, s18, 0
	v_mov_b32_e32 v0, v3
	v_mad_u64_u32 v[4:5], s[2:3], v8, s19, v[0:1]
	v_mov_b32_e32 v3, v4
	v_lshlrev_b64 v[2:3], 3, v[2:3]
	v_add_co_u32_e32 v2, vcc, v9, v2
	v_addc_co_u32_e32 v3, vcc, v11, v3, vcc
	global_load_dwordx2 v[2:3], v[2:3], off
	s_load_dwordx2 s[2:3], s[4:5], 0x80
	v_mul_lo_u32 v0, v7, s26
	v_mad_u64_u32 v[4:5], s[4:5], v10, s8, 0
	v_sub_u32_e32 v0, v6, v0
	v_mov_b32_e32 v6, v5
	v_mad_u64_u32 v[8:9], s[4:5], v13, s12, 0
	v_mad_u64_u32 v[6:7], s[4:5], v10, s9, v[6:7]
	v_mov_b32_e32 v10, v9
	v_mov_b32_e32 v5, v6
	v_mad_u64_u32 v[6:7], s[4:5], v14, s10, 0
	v_mad_u64_u32 v[10:11], s[4:5], v13, s13, v[10:11]
	v_lshlrev_b64 v[4:5], 2, v[4:5]
	v_mov_b32_e32 v15, s1
	v_mov_b32_e32 v12, v7
	;; [unrolled: 1-line block ×3, first 2 shown]
	v_add_co_u32_e32 v10, vcc, s0, v4
	v_addc_co_u32_e32 v11, vcc, v15, v5, vcc
	v_mad_u64_u32 v[4:5], s[0:1], v14, s11, v[12:13]
	v_mov_b32_e32 v7, v4
	v_lshlrev_b64 v[4:5], 2, v[6:7]
	v_add_co_u32_e32 v4, vcc, v10, v4
	v_lshlrev_b64 v[8:9], 2, v[8:9]
	v_addc_co_u32_e32 v5, vcc, v11, v5, vcc
	v_add_co_u32_e32 v6, vcc, v4, v8
	v_addc_co_u32_e32 v7, vcc, v5, v9, vcc
	s_waitcnt vmcnt(0)
	v_mul_lo_u32 v4, v3, s20
	v_mul_lo_u32 v5, v2, s21
	v_mad_u64_u32 v[2:3], s[0:1], v2, s20, 0
	v_add3_u32 v3, v3, v5, v4
	s_waitcnt lgkmcnt(0)
	v_mad_u64_u32 v[2:3], s[0:1], v13, s2, v[2:3]
	v_mov_b32_e32 v4, v3
	v_mad_u64_u32 v[4:5], s[0:1], v13, s3, v[4:5]
	v_mov_b32_e32 v3, v4
	;; [unrolled: 2-line block ×3, first 2 shown]
	v_mad_u64_u32 v[12:13], s[0:1], v14, s23, v[2:3]
	v_lshlrev_b64 v[2:3], 2, v[0:1]
	s_add_u32 s0, 0, 0x38e27e00
	v_add_co_u32_e32 v34, vcc, v6, v2
	s_addc_u32 s1, 0, 62
	v_addc_co_u32_e32 v35, vcc, v7, v3, vcc
	s_add_i32 s1, s1, 0xe38e350
	s_mul_hi_u32 s5, s0, 0xffffffee
	global_load_dwordx4 v[14:17], v[34:35], off offset:16
	global_load_dwordx4 v[22:25], v[34:35], off
	s_sub_i32 s5, s5, s0
	s_mul_i32 s8, s1, 0xffffffee
	s_mul_i32 s2, s0, 0xffffffee
	s_add_i32 s5, s5, s8
	s_mul_hi_u32 s3, s1, s2
	s_mul_i32 s4, s1, s2
	s_mul_i32 s9, s0, s5
	s_mul_hi_u32 s2, s0, s2
	s_mul_hi_u32 s8, s0, s5
	s_add_u32 s2, s2, s9
	s_addc_u32 s8, 0, s8
	s_add_u32 s2, s2, s4
	s_mul_hi_u32 s9, s1, s5
	s_addc_u32 s2, s8, s3
	s_addc_u32 s3, s9, 0
	s_mul_i32 s4, s1, s5
	s_add_u32 s2, s2, s4
	v_mov_b32_e32 v1, s2
	s_addc_u32 s3, 0, s3
	v_add_co_u32_e32 v1, vcc, s0, v1
	s_cmp_lg_u64 vcc, 0
	s_addc_u32 s2, s1, s3
	v_mad_u64_u32 v[2:3], s[0:1], v10, s2, 0
	v_mul_hi_u32 v4, v10, v1
	v_add_co_u32_e32 v11, vcc, v4, v2
	v_addc_co_u32_e32 v13, vcc, 0, v3, vcc
	global_load_dwordx4 v[2:5], v[34:35], off offset:48
	global_load_dwordx4 v[6:9], v[34:35], off offset:32
	v_mad_u64_u32 v[18:19], s[0:1], v12, v1, 0
	v_add_co_u32_e32 v1, vcc, v11, v18
	v_mad_u64_u32 v[20:21], s[0:1], v12, s2, 0
	v_addc_co_u32_e32 v1, vcc, v13, v19, vcc
	v_addc_co_u32_e32 v11, vcc, 0, v21, vcc
	global_load_dwordx4 v[26:29], v[34:35], off offset:80
	global_load_dwordx4 v[30:33], v[34:35], off offset:64
	v_add_co_u32_e32 v1, vcc, v1, v20
	v_mad_u64_u32 v[18:19], s[0:1], v1, 18, 0
	v_addc_co_u32_e32 v11, vcc, 0, v11, vcc
	v_mov_b32_e32 v20, v19
	v_mad_u64_u32 v[20:21], s[0:1], v11, 18, v[20:21]
	v_sub_co_u32_e32 v10, vcc, v10, v18
	v_subb_co_u32_e32 v12, vcc, v12, v20, vcc
	v_subrev_co_u32_e32 v13, vcc, 18, v10
	v_subbrev_co_u32_e32 v18, vcc, 0, v12, vcc
	v_cmp_lt_u32_e32 vcc, 17, v13
	v_cndmask_b32_e64 v13, 0, -1, vcc
	v_cmp_eq_u32_e32 vcc, 0, v18
	v_cndmask_b32_e32 v13, -1, v13, vcc
	v_add_co_u32_e32 v18, vcc, 2, v1
	v_addc_co_u32_e32 v19, vcc, 0, v11, vcc
	v_add_co_u32_e32 v20, vcc, 1, v1
	v_cmp_lt_u32_e64 s[0:1], 17, v10
	v_addc_co_u32_e32 v21, vcc, 0, v11, vcc
	v_cndmask_b32_e64 v10, 0, -1, s[0:1]
	v_cmp_eq_u32_e64 s[0:1], 0, v12
	v_cmp_ne_u32_e32 vcc, 0, v13
	v_cndmask_b32_e64 v10, -1, v10, s[0:1]
	v_cndmask_b32_e32 v13, v21, v19, vcc
	v_cmp_ne_u32_e64 s[0:1], 0, v10
	v_cndmask_b32_e64 v37, v11, v13, s[0:1]
	v_cndmask_b32_e32 v36, v20, v18, vcc
	global_load_dwordx4 v[10:13], v[34:35], off offset:112
	global_load_dwordx4 v[18:21], v[34:35], off offset:96
	v_cndmask_b32_e64 v1, v1, v36, s[0:1]
	v_mad_u64_u32 v[34:35], s[0:1], v1, 18, s[6:7]
	v_mov_b32_e32 v36, v35
	v_mad_u64_u32 v[36:37], s[0:1], v37, 18, v[36:37]
	s_waitcnt vmcnt(6)
	v_cmp_lg_f32_e32 vcc, 0, v22
	v_mov_b32_e32 v35, v36
	v_cndmask_b32_e64 v36, 0, |v22|, vcc
	v_cndmask_b32_e32 v1, 0, v22, vcc
	v_cmp_lt_f32_e64 vcc, v36, |v23|
	v_cndmask_b32_e64 v36, v36, |v23|, vcc
	v_cndmask_b32_e32 v1, v1, v23, vcc
	v_cmp_lt_f32_e64 vcc, v36, |v24|
	v_cndmask_b32_e64 v36, v36, |v24|, vcc
	v_cndmask_b32_e32 v1, v1, v24, vcc
	v_cmp_lt_f32_e64 vcc, v36, |v25|
	v_cndmask_b32_e64 v36, v36, |v25|, vcc
	v_cndmask_b32_e32 v1, v1, v25, vcc
	v_cmp_lt_f32_e64 vcc, v36, |v14|
	v_cndmask_b32_e64 v36, v36, |v14|, vcc
	v_cndmask_b32_e32 v1, v1, v14, vcc
	v_cmp_lt_f32_e64 vcc, v36, |v15|
	v_cndmask_b32_e64 v36, v36, |v15|, vcc
	v_cndmask_b32_e32 v1, v1, v15, vcc
	v_cmp_lt_f32_e64 vcc, v36, |v16|
	v_cndmask_b32_e64 v36, v36, |v16|, vcc
	v_cndmask_b32_e32 v1, v1, v16, vcc
	v_cmp_lt_f32_e64 vcc, v36, |v17|
	v_cndmask_b32_e64 v36, v36, |v17|, vcc
	v_cndmask_b32_e32 v1, v1, v17, vcc
	s_waitcnt vmcnt(4)
	v_cmp_lt_f32_e64 vcc, v36, |v6|
	v_cndmask_b32_e64 v36, v36, |v6|, vcc
	v_cndmask_b32_e32 v1, v1, v6, vcc
	v_cmp_lt_f32_e64 vcc, v36, |v7|
	v_cndmask_b32_e64 v36, v36, |v7|, vcc
	v_cndmask_b32_e32 v1, v1, v7, vcc
	v_cmp_lt_f32_e64 vcc, v36, |v8|
	v_cndmask_b32_e64 v36, v36, |v8|, vcc
	v_cndmask_b32_e32 v1, v1, v8, vcc
	v_cmp_lt_f32_e64 vcc, v36, |v9|
	v_cndmask_b32_e64 v36, v36, |v9|, vcc
	v_cndmask_b32_e32 v1, v1, v9, vcc
	v_cmp_lt_f32_e64 vcc, v36, |v2|
	v_cndmask_b32_e64 v36, v36, |v2|, vcc
	v_cndmask_b32_e32 v1, v1, v2, vcc
	v_cmp_lt_f32_e64 vcc, v36, |v3|
	v_cndmask_b32_e64 v36, v36, |v3|, vcc
	v_cndmask_b32_e32 v1, v1, v3, vcc
	v_cmp_lt_f32_e64 vcc, v36, |v4|
	v_cndmask_b32_e64 v36, v36, |v4|, vcc
	v_cndmask_b32_e32 v1, v1, v4, vcc
	v_cmp_lt_f32_e64 vcc, v36, |v5|
	v_cndmask_b32_e64 v36, v36, |v5|, vcc
	v_cndmask_b32_e32 v1, v1, v5, vcc
	s_waitcnt vmcnt(2)
	v_cmp_lt_f32_e64 vcc, v36, |v30|
	;; [unrolled: 25-line block ×3, first 2 shown]
	v_cndmask_b32_e64 v36, v36, |v18|, vcc
	v_cndmask_b32_e32 v1, v1, v18, vcc
	v_cmp_lt_f32_e64 vcc, v36, |v19|
	v_cndmask_b32_e64 v36, v36, |v19|, vcc
	v_cndmask_b32_e32 v1, v1, v19, vcc
	v_cmp_lt_f32_e64 vcc, v36, |v20|
	;; [unrolled: 3-line block ×7, first 2 shown]
	v_cndmask_b32_e32 v36, v1, v13, vcc
	v_mul_f32_e32 v37, 0xbe000000, v36
	v_div_scale_f32 v38, s[0:1], v37, v37, 1.0
	v_rcp_f32_e32 v39, v38
	v_lshrrev_b32_e32 v0, 5, v0
	v_mad_u64_u32 v[0:1], s[0:1], v0, 18, v[34:35]
	v_fma_f32 v34, -v38, v39, 1.0
	v_fmac_f32_e32 v39, v34, v39
	v_div_scale_f32 v34, vcc, 1.0, v37, 1.0
	v_mul_f32_e32 v35, v34, v39
	v_fma_f32 v40, -v38, v35, v34
	v_fmac_f32_e32 v35, v40, v39
	v_fma_f32 v34, -v38, v35, v34
	v_div_fmas_f32 v34, v34, v39, v35
	v_div_fixup_f32 v34, v34, v37, 1.0
	v_cmp_neq_f32_e32 vcc, 0, v37
	v_cndmask_b32_e32 v37, 0, v34, vcc
	v_mov_b32_e32 v38, 0x41080000
	v_fma_f32 v22, v22, v37, v38
	v_cvt_i32_f32_e32 v22, v22
	s_mov_b32 s0, 0xbe000000
	v_fma_mixlo_f16 v34, v36, s0, 0
	global_store_short v[0:1], v34, off
	v_cvt_f64_i32_e32 v[34:35], v22
	v_fma_f32 v22, v30, v37, v38
	v_cvt_i32_f32_e32 v22, v22
	s_mov_b32 s0, 0
	s_mov_b32 s1, 0x402e0000
	v_min_f64 v[34:35], v[34:35], s[0:1]
	v_cvt_i32_f64_e32 v30, v[34:35]
	v_cvt_f64_i32_e32 v[34:35], v22
	v_min_f64 v[34:35], v[34:35], s[0:1]
	v_cvt_i32_f64_e32 v22, v[34:35]
	v_fma_f32 v23, v23, v37, v38
	v_lshlrev_b16_e32 v22, 4, v22
	v_cvt_i32_f32_e32 v23, v23
	v_or_b32_e32 v30, v22, v30
	v_fma_f32 v22, v31, v37, v38
	v_cvt_i32_f32_e32 v31, v22
	v_cvt_f64_i32_e32 v[22:23], v23
	v_min_f64 v[22:23], v[22:23], s[0:1]
	v_cvt_i32_f64_e32 v34, v[22:23]
	v_cvt_f64_i32_e32 v[22:23], v31
	v_fma_f32 v24, v24, v37, v38
	v_min_f64 v[22:23], v[22:23], s[0:1]
	v_cvt_i32_f32_e32 v24, v24
	v_cvt_i32_f64_e32 v31, v[22:23]
	v_fma_f32 v22, v32, v37, v38
	v_cvt_i32_f32_e32 v32, v22
	v_cvt_f64_i32_e32 v[22:23], v24
	v_min_f64 v[22:23], v[22:23], s[0:1]
	v_cvt_i32_f64_e32 v24, v[22:23]
	v_cvt_f64_i32_e32 v[22:23], v32
	v_min_f64 v[22:23], v[22:23], s[0:1]
	v_cvt_i32_f64_e32 v22, v[22:23]
	v_fma_f32 v23, v25, v37, v38
	v_lshlrev_b16_e32 v22, 4, v22
	v_cvt_i32_f32_e32 v23, v23
	v_or_b32_e32 v24, v22, v24
	v_fma_f32 v22, v33, v37, v38
	v_cvt_i32_f32_e32 v25, v22
	v_cvt_f64_i32_e32 v[22:23], v23
	v_min_f64 v[22:23], v[22:23], s[0:1]
	v_cvt_i32_f64_e32 v32, v[22:23]
	v_cvt_f64_i32_e32 v[22:23], v25
	v_fma_f32 v14, v14, v37, v38
	v_min_f64 v[22:23], v[22:23], s[0:1]
	v_cvt_i32_f32_e32 v14, v14
	v_cvt_i32_f64_e32 v25, v[22:23]
	v_fma_f32 v22, v26, v37, v38
	v_cvt_i32_f32_e32 v26, v22
	v_cvt_f64_i32_e32 v[22:23], v14
	;; [unrolled: 22-line block ×7, first 2 shown]
	v_min_f64 v[2:3], v[2:3], s[0:1]
	v_cvt_i32_f64_e32 v4, v[2:3]
	v_cvt_f64_i32_e32 v[2:3], v11
	v_min_f64 v[2:3], v[2:3], s[0:1]
	v_cvt_i32_f64_e32 v2, v[2:3]
	v_fma_f32 v3, v5, v37, v38
	v_cvt_i32_f32_e32 v3, v3
	v_fmac_f32_e32 v38, v13, v37
	v_cvt_i32_f32_e32 v5, v38
	v_lshlrev_b16_e32 v2, 4, v2
	v_or_b32_e32 v4, v2, v4
	v_cvt_f64_i32_e32 v[2:3], v3
	v_min_f64 v[2:3], v[2:3], s[0:1]
	v_cvt_i32_f64_e32 v11, v[2:3]
	v_cvt_f64_i32_e32 v[2:3], v5
	v_min_f64 v[2:3], v[2:3], s[0:1]
	v_cvt_i32_f64_e32 v2, v[2:3]
	v_lshlrev_b16_e32 v3, 8, v10
	v_lshlrev_b16_e32 v5, 12, v7
	v_or_b32_e32 v3, v5, v3
	v_lshlrev_b16_e32 v5, 8, v11
	v_lshlrev_b16_e32 v2, 12, v2
	v_or_b32_e32 v2, v2, v5
	v_or_b32_sdwa v3, v6, v3 dst_sel:DWORD dst_unused:UNUSED_PAD src0_sel:BYTE_0 src1_sel:DWORD
	v_or_b32_sdwa v2, v4, v2 dst_sel:WORD_1 dst_unused:UNUSED_PAD src0_sel:BYTE_0 src1_sel:DWORD
	v_or_b32_sdwa v5, v3, v2 dst_sel:DWORD dst_unused:UNUSED_PAD src0_sel:WORD_0 src1_sel:DWORD
	v_lshlrev_b16_e32 v2, 8, v18
	v_lshlrev_b16_e32 v3, 12, v15
	v_or_b32_e32 v2, v3, v2
	v_lshlrev_b16_e32 v3, 8, v19
	v_lshlrev_b16_e32 v4, 12, v9
	v_or_b32_e32 v3, v4, v3
	v_or_b32_sdwa v2, v14, v2 dst_sel:DWORD dst_unused:UNUSED_PAD src0_sel:BYTE_0 src1_sel:DWORD
	v_or_b32_sdwa v3, v8, v3 dst_sel:WORD_1 dst_unused:UNUSED_PAD src0_sel:BYTE_0 src1_sel:DWORD
	v_or_b32_sdwa v4, v2, v3 dst_sel:DWORD dst_unused:UNUSED_PAD src0_sel:WORD_0 src1_sel:DWORD
	v_lshlrev_b16_e32 v2, 8, v26
	v_lshlrev_b16_e32 v3, 12, v23
	v_or_b32_e32 v2, v3, v2
	v_lshlrev_b16_e32 v3, 8, v27
	v_lshlrev_b16_e32 v6, 12, v17
	v_or_b32_e32 v3, v6, v3
	v_or_b32_sdwa v2, v22, v2 dst_sel:DWORD dst_unused:UNUSED_PAD src0_sel:BYTE_0 src1_sel:DWORD
	v_or_b32_sdwa v3, v16, v3 dst_sel:WORD_1 dst_unused:UNUSED_PAD src0_sel:BYTE_0 src1_sel:DWORD
	v_or_b32_sdwa v3, v2, v3 dst_sel:DWORD dst_unused:UNUSED_PAD src0_sel:WORD_0 src1_sel:DWORD
	v_lshlrev_b16_e32 v2, 8, v34
	v_lshlrev_b16_e32 v6, 12, v31
	v_or_b32_e32 v2, v6, v2
	v_lshlrev_b16_e32 v6, 8, v32
	v_lshlrev_b16_e32 v7, 12, v25
	v_or_b32_e32 v6, v7, v6
	v_or_b32_sdwa v2, v30, v2 dst_sel:DWORD dst_unused:UNUSED_PAD src0_sel:BYTE_0 src1_sel:DWORD
	v_or_b32_sdwa v6, v24, v6 dst_sel:WORD_1 dst_unused:UNUSED_PAD src0_sel:BYTE_0 src1_sel:DWORD
	v_or_b32_sdwa v2, v2, v6 dst_sel:DWORD dst_unused:UNUSED_PAD src0_sel:WORD_0 src1_sel:DWORD
	global_store_dwordx4 v[0:1], v[2:5], off offset:2
.LBB3_2:
	s_endpgm
	.section	.rodata,"a",@progbits
	.p2align	6, 0x0
	.amdhsa_kernel _ZL16k_set_rows_quantIl10block_q4_0Li32ETnPFvPKfPT0_EXadL_ZL23quantize_f32_q4_0_blockS2_PS0_EEEvS2_PKT_S4_llllllllllllll15HIP_vector_typeIjLj3EESC_SC_SC_SC_
		.amdhsa_group_segment_fixed_size 0
		.amdhsa_private_segment_fixed_size 0
		.amdhsa_kernarg_size 456
		.amdhsa_user_sgpr_count 6
		.amdhsa_user_sgpr_private_segment_buffer 1
		.amdhsa_user_sgpr_dispatch_ptr 0
		.amdhsa_user_sgpr_queue_ptr 0
		.amdhsa_user_sgpr_kernarg_segment_ptr 1
		.amdhsa_user_sgpr_dispatch_id 0
		.amdhsa_user_sgpr_flat_scratch_init 0
		.amdhsa_user_sgpr_kernarg_preload_length 0
		.amdhsa_user_sgpr_kernarg_preload_offset 0
		.amdhsa_user_sgpr_private_segment_size 0
		.amdhsa_uses_dynamic_stack 0
		.amdhsa_system_sgpr_private_segment_wavefront_offset 0
		.amdhsa_system_sgpr_workgroup_id_x 1
		.amdhsa_system_sgpr_workgroup_id_y 0
		.amdhsa_system_sgpr_workgroup_id_z 0
		.amdhsa_system_sgpr_workgroup_info 0
		.amdhsa_system_vgpr_workitem_id 0
		.amdhsa_next_free_vgpr 41
		.amdhsa_next_free_sgpr 40
		.amdhsa_accum_offset 44
		.amdhsa_reserve_vcc 1
		.amdhsa_reserve_flat_scratch 0
		.amdhsa_float_round_mode_32 0
		.amdhsa_float_round_mode_16_64 0
		.amdhsa_float_denorm_mode_32 3
		.amdhsa_float_denorm_mode_16_64 3
		.amdhsa_dx10_clamp 1
		.amdhsa_ieee_mode 1
		.amdhsa_fp16_overflow 0
		.amdhsa_tg_split 0
		.amdhsa_exception_fp_ieee_invalid_op 0
		.amdhsa_exception_fp_denorm_src 0
		.amdhsa_exception_fp_ieee_div_zero 0
		.amdhsa_exception_fp_ieee_overflow 0
		.amdhsa_exception_fp_ieee_underflow 0
		.amdhsa_exception_fp_ieee_inexact 0
		.amdhsa_exception_int_div_zero 0
	.end_amdhsa_kernel
	.section	.text._ZL16k_set_rows_quantIl10block_q4_0Li32ETnPFvPKfPT0_EXadL_ZL23quantize_f32_q4_0_blockS2_PS0_EEEvS2_PKT_S4_llllllllllllll15HIP_vector_typeIjLj3EESC_SC_SC_SC_,"axG",@progbits,_ZL16k_set_rows_quantIl10block_q4_0Li32ETnPFvPKfPT0_EXadL_ZL23quantize_f32_q4_0_blockS2_PS0_EEEvS2_PKT_S4_llllllllllllll15HIP_vector_typeIjLj3EESC_SC_SC_SC_,comdat
.Lfunc_end3:
	.size	_ZL16k_set_rows_quantIl10block_q4_0Li32ETnPFvPKfPT0_EXadL_ZL23quantize_f32_q4_0_blockS2_PS0_EEEvS2_PKT_S4_llllllllllllll15HIP_vector_typeIjLj3EESC_SC_SC_SC_, .Lfunc_end3-_ZL16k_set_rows_quantIl10block_q4_0Li32ETnPFvPKfPT0_EXadL_ZL23quantize_f32_q4_0_blockS2_PS0_EEEvS2_PKT_S4_llllllllllllll15HIP_vector_typeIjLj3EESC_SC_SC_SC_
                                        ; -- End function
	.section	.AMDGPU.csdata,"",@progbits
; Kernel info:
; codeLenInByte = 2984
; NumSgprs: 44
; NumVgprs: 41
; NumAgprs: 0
; TotalNumVgprs: 41
; ScratchSize: 0
; MemoryBound: 0
; FloatMode: 240
; IeeeMode: 1
; LDSByteSize: 0 bytes/workgroup (compile time only)
; SGPRBlocks: 5
; VGPRBlocks: 5
; NumSGPRsForWavesPerEU: 44
; NumVGPRsForWavesPerEU: 41
; AccumOffset: 44
; Occupancy: 8
; WaveLimiterHint : 1
; COMPUTE_PGM_RSRC2:SCRATCH_EN: 0
; COMPUTE_PGM_RSRC2:USER_SGPR: 6
; COMPUTE_PGM_RSRC2:TRAP_HANDLER: 0
; COMPUTE_PGM_RSRC2:TGID_X_EN: 1
; COMPUTE_PGM_RSRC2:TGID_Y_EN: 0
; COMPUTE_PGM_RSRC2:TGID_Z_EN: 0
; COMPUTE_PGM_RSRC2:TIDIG_COMP_CNT: 0
; COMPUTE_PGM_RSRC3_GFX90A:ACCUM_OFFSET: 10
; COMPUTE_PGM_RSRC3_GFX90A:TG_SPLIT: 0
	.section	.text._ZL16k_set_rows_quantIl10block_q4_1Li32ETnPFvPKfPT0_EXadL_ZL23quantize_f32_q4_1_blockS2_PS0_EEEvS2_PKT_S4_llllllllllllll15HIP_vector_typeIjLj3EESC_SC_SC_SC_,"axG",@progbits,_ZL16k_set_rows_quantIl10block_q4_1Li32ETnPFvPKfPT0_EXadL_ZL23quantize_f32_q4_1_blockS2_PS0_EEEvS2_PKT_S4_llllllllllllll15HIP_vector_typeIjLj3EESC_SC_SC_SC_,comdat
	.globl	_ZL16k_set_rows_quantIl10block_q4_1Li32ETnPFvPKfPT0_EXadL_ZL23quantize_f32_q4_1_blockS2_PS0_EEEvS2_PKT_S4_llllllllllllll15HIP_vector_typeIjLj3EESC_SC_SC_SC_ ; -- Begin function _ZL16k_set_rows_quantIl10block_q4_1Li32ETnPFvPKfPT0_EXadL_ZL23quantize_f32_q4_1_blockS2_PS0_EEEvS2_PKT_S4_llllllllllllll15HIP_vector_typeIjLj3EESC_SC_SC_SC_
	.p2align	8
	.type	_ZL16k_set_rows_quantIl10block_q4_1Li32ETnPFvPKfPT0_EXadL_ZL23quantize_f32_q4_1_blockS2_PS0_EEEvS2_PKT_S4_llllllllllllll15HIP_vector_typeIjLj3EESC_SC_SC_SC_,@function
_ZL16k_set_rows_quantIl10block_q4_1Li32ETnPFvPKfPT0_EXadL_ZL23quantize_f32_q4_1_blockS2_PS0_EEEvS2_PKT_S4_llllllllllllll15HIP_vector_typeIjLj3EESC_SC_SC_SC_: ; @_ZL16k_set_rows_quantIl10block_q4_1Li32ETnPFvPKfPT0_EXadL_ZL23quantize_f32_q4_1_blockS2_PS0_EEEvS2_PKT_S4_llllllllllllll15HIP_vector_typeIjLj3EESC_SC_SC_SC_
; %bb.0:
	s_load_dword s2, s[4:5], 0xd4
	s_load_dwordx2 s[0:1], s[4:5], 0x18
	v_mov_b32_e32 v1, 0
	v_mov_b32_e32 v2, s6
	s_waitcnt lgkmcnt(0)
	s_and_b32 s2, s2, 0xffff
	v_mad_u64_u32 v[2:3], s[2:3], s2, v2, v[0:1]
	v_cmp_gt_i64_e32 vcc, s[0:1], v[2:3]
	s_and_saveexec_b64 s[0:1], vcc
	s_cbranch_execz .LBB4_2
; %bb.1:
	s_load_dwordx4 s[0:3], s[4:5], 0x0
	s_load_dwordx2 s[6:7], s[4:5], 0x10
	s_load_dwordx16 s[8:23], s[4:5], 0x40
	s_load_dwordx8 s[24:31], s[4:5], 0x88
	s_load_dword s33, s[4:5], 0xc0
	s_load_dwordx2 s[34:35], s[4:5], 0xb8
	s_load_dwordx4 s[36:39], s[4:5], 0xa8
	v_lshlrev_b32_e32 v6, 5, v2
	s_waitcnt lgkmcnt(0)
	v_mul_hi_u32 v0, s24, v6
	v_add_u32_e32 v0, v6, v0
	v_lshrrev_b32_e32 v7, s25, v0
	v_mul_hi_u32 v0, v7, s27
	v_add_u32_e32 v0, v7, v0
	v_lshrrev_b32_e32 v0, s28, v0
	v_mul_lo_u32 v2, v0, s29
	v_sub_u32_e32 v10, v7, v2
	v_mul_hi_u32 v2, v0, s30
	v_add_u32_e32 v2, v0, v2
	v_lshrrev_b32_e32 v13, s31, v2
	v_mul_lo_u32 v2, v13, s36
	v_sub_u32_e32 v14, v0, v2
	;; [unrolled: 5-line block ×3, first 2 shown]
	v_mul_hi_u32 v0, v14, s37
	v_add_u32_e32 v0, v14, v0
	v_lshrrev_b32_e32 v0, s38, v0
	v_mul_lo_u32 v0, v0, s39
	v_mad_u64_u32 v[2:3], s[24:25], v10, s14, 0
	v_sub_u32_e32 v9, v14, v0
	v_mov_b32_e32 v0, v3
	v_mad_u64_u32 v[4:5], s[14:15], v10, s15, v[0:1]
	v_mov_b32_e32 v3, v4
	v_lshlrev_b64 v[2:3], 3, v[2:3]
	v_mov_b32_e32 v0, s3
	v_add_co_u32_e32 v11, vcc, s2, v2
	v_addc_co_u32_e32 v12, vcc, v0, v3, vcc
	v_mad_u64_u32 v[2:3], s[2:3], v9, s16, 0
	v_mov_b32_e32 v0, v3
	v_mad_u64_u32 v[4:5], s[2:3], v9, s17, v[0:1]
	v_mov_b32_e32 v3, v4
	v_lshlrev_b64 v[2:3], 3, v[2:3]
	v_add_co_u32_e32 v9, vcc, v11, v2
	v_addc_co_u32_e32 v11, vcc, v12, v3, vcc
	v_mad_u64_u32 v[2:3], s[2:3], v8, s18, 0
	v_mov_b32_e32 v0, v3
	v_mad_u64_u32 v[4:5], s[2:3], v8, s19, v[0:1]
	v_mov_b32_e32 v3, v4
	v_lshlrev_b64 v[2:3], 3, v[2:3]
	v_add_co_u32_e32 v2, vcc, v9, v2
	v_addc_co_u32_e32 v3, vcc, v11, v3, vcc
	global_load_dwordx2 v[2:3], v[2:3], off
	s_load_dwordx2 s[2:3], s[4:5], 0x80
	v_mul_lo_u32 v0, v7, s26
	v_mad_u64_u32 v[4:5], s[4:5], v10, s8, 0
	v_sub_u32_e32 v0, v6, v0
	v_mov_b32_e32 v6, v5
	v_mad_u64_u32 v[8:9], s[4:5], v13, s12, 0
	v_mad_u64_u32 v[6:7], s[4:5], v10, s9, v[6:7]
	v_mov_b32_e32 v10, v9
	v_mov_b32_e32 v5, v6
	v_mad_u64_u32 v[6:7], s[4:5], v14, s10, 0
	v_mad_u64_u32 v[10:11], s[4:5], v13, s13, v[10:11]
	v_lshlrev_b64 v[4:5], 2, v[4:5]
	v_mov_b32_e32 v15, s1
	v_mov_b32_e32 v12, v7
	;; [unrolled: 1-line block ×3, first 2 shown]
	v_add_co_u32_e32 v10, vcc, s0, v4
	v_addc_co_u32_e32 v11, vcc, v15, v5, vcc
	v_mad_u64_u32 v[4:5], s[0:1], v14, s11, v[12:13]
	v_mov_b32_e32 v7, v4
	v_lshlrev_b64 v[4:5], 2, v[6:7]
	v_add_co_u32_e32 v4, vcc, v10, v4
	v_lshlrev_b64 v[8:9], 2, v[8:9]
	v_addc_co_u32_e32 v5, vcc, v11, v5, vcc
	v_add_co_u32_e32 v6, vcc, v4, v8
	v_addc_co_u32_e32 v7, vcc, v5, v9, vcc
	s_waitcnt vmcnt(0)
	v_mul_lo_u32 v4, v3, s20
	v_mul_lo_u32 v5, v2, s21
	v_mad_u64_u32 v[2:3], s[0:1], v2, s20, 0
	v_add3_u32 v3, v3, v5, v4
	s_waitcnt lgkmcnt(0)
	v_mad_u64_u32 v[2:3], s[0:1], v13, s2, v[2:3]
	v_mov_b32_e32 v4, v3
	v_mad_u64_u32 v[4:5], s[0:1], v13, s3, v[4:5]
	v_mov_b32_e32 v3, v4
	v_mad_u64_u32 v[10:11], s[0:1], v14, s22, v[2:3]
	v_mov_b32_e32 v2, v11
	v_mad_u64_u32 v[12:13], s[0:1], v14, s23, v[2:3]
	v_lshlrev_b64 v[2:3], 2, v[0:1]
	v_add_co_u32_e32 v36, vcc, v6, v2
	v_addc_co_u32_e32 v37, vcc, v7, v3, vcc
	global_load_dwordx4 v[14:17], v[36:37], off offset:16
	global_load_dwordx4 v[22:25], v[36:37], off
	s_add_u32 s0, 0, 0xcccc3000
	s_addc_u32 s1, 0, 44
	s_add_i32 s1, s1, 0xccccca0
	s_mul_hi_u32 s5, s0, 0xffffffec
	s_sub_i32 s5, s5, s0
	s_mul_i32 s8, s1, 0xffffffec
	s_mul_i32 s2, s0, 0xffffffec
	s_add_i32 s5, s5, s8
	s_mul_hi_u32 s3, s1, s2
	s_mul_i32 s4, s1, s2
	s_mul_i32 s9, s0, s5
	s_mul_hi_u32 s2, s0, s2
	s_mul_hi_u32 s8, s0, s5
	s_add_u32 s2, s2, s9
	s_addc_u32 s8, 0, s8
	s_add_u32 s2, s2, s4
	s_mul_hi_u32 s9, s1, s5
	s_addc_u32 s2, s8, s3
	s_addc_u32 s3, s9, 0
	s_mul_i32 s4, s1, s5
	s_add_u32 s2, s2, s4
	v_mov_b32_e32 v1, s2
	s_addc_u32 s3, 0, s3
	v_add_co_u32_e32 v1, vcc, s0, v1
	s_cmp_lg_u64 vcc, 0
	s_addc_u32 s2, s1, s3
	v_mad_u64_u32 v[2:3], s[0:1], v10, s2, 0
	v_mul_hi_u32 v4, v10, v1
	v_add_co_u32_e32 v4, vcc, v4, v2
	v_addc_co_u32_e32 v5, vcc, 0, v3, vcc
	v_mad_u64_u32 v[2:3], s[0:1], v12, v1, 0
	v_add_co_u32_e32 v1, vcc, v4, v2
	v_addc_co_u32_e32 v1, vcc, v5, v3, vcc
	global_load_dwordx4 v[2:5], v[36:37], off offset:48
	global_load_dwordx4 v[6:9], v[36:37], off offset:32
	v_mad_u64_u32 v[18:19], s[0:1], v12, s2, 0
	v_addc_co_u32_e32 v11, vcc, 0, v19, vcc
	v_add_co_u32_e32 v1, vcc, v1, v18
	v_mad_u64_u32 v[18:19], s[0:1], v1, 20, 0
	v_addc_co_u32_e32 v11, vcc, 0, v11, vcc
	v_mov_b32_e32 v20, v19
	v_mad_u64_u32 v[20:21], s[0:1], v11, 20, v[20:21]
	v_sub_co_u32_e32 v10, vcc, v10, v18
	v_subb_co_u32_e32 v12, vcc, v12, v20, vcc
	v_subrev_co_u32_e32 v13, vcc, 20, v10
	v_subbrev_co_u32_e32 v18, vcc, 0, v12, vcc
	v_cmp_lt_u32_e32 vcc, 19, v13
	global_load_dwordx4 v[26:29], v[36:37], off offset:80
	global_load_dwordx4 v[30:33], v[36:37], off offset:64
	v_cndmask_b32_e64 v13, 0, -1, vcc
	v_cmp_eq_u32_e32 vcc, 0, v18
	v_cndmask_b32_e32 v13, -1, v13, vcc
	v_add_co_u32_e32 v18, vcc, 2, v1
	v_addc_co_u32_e32 v19, vcc, 0, v11, vcc
	v_add_co_u32_e32 v20, vcc, 1, v1
	v_cmp_lt_u32_e64 s[0:1], 19, v10
	v_addc_co_u32_e32 v21, vcc, 0, v11, vcc
	v_cndmask_b32_e64 v10, 0, -1, s[0:1]
	v_cmp_eq_u32_e64 s[0:1], 0, v12
	v_cmp_ne_u32_e32 vcc, 0, v13
	v_cndmask_b32_e64 v10, -1, v10, s[0:1]
	v_cmp_ne_u32_e64 s[0:1], 0, v10
	v_cndmask_b32_e32 v10, v20, v18, vcc
	v_cndmask_b32_e32 v13, v21, v19, vcc
	v_cndmask_b32_e64 v1, v1, v10, s[0:1]
	v_cndmask_b32_e64 v39, v11, v13, s[0:1]
	v_mad_u64_u32 v[34:35], s[0:1], v1, 20, s[6:7]
	s_waitcnt vmcnt(4)
	v_max_f32_e32 v1, v22, v22
	v_min_f32_e32 v10, 0x7f7fffff, v1
	v_max_f32_e32 v1, 0xff7fffff, v1
	v_cmp_lt_f32_e32 vcc, v23, v10
	v_cndmask_b32_e32 v10, v10, v23, vcc
	v_cmp_gt_f32_e32 vcc, v23, v1
	v_cndmask_b32_e32 v1, v1, v23, vcc
	v_cmp_lt_f32_e32 vcc, v24, v10
	v_cndmask_b32_e32 v10, v10, v24, vcc
	v_cmp_gt_f32_e32 vcc, v24, v1
	v_cndmask_b32_e32 v1, v1, v24, vcc
	v_cmp_lt_f32_e32 vcc, v25, v10
	v_mov_b32_e32 v38, v35
	v_cndmask_b32_e32 v35, v10, v25, vcc
	global_load_dwordx4 v[10:13], v[36:37], off offset:112
	global_load_dwordx4 v[18:21], v[36:37], off offset:96
	v_cmp_gt_f32_e32 vcc, v25, v1
	v_cndmask_b32_e32 v1, v1, v25, vcc
	v_cmp_lt_f32_e32 vcc, v14, v35
	v_cndmask_b32_e32 v35, v35, v14, vcc
	v_cmp_gt_f32_e32 vcc, v14, v1
	v_cndmask_b32_e32 v1, v1, v14, vcc
	v_cmp_lt_f32_e32 vcc, v15, v35
	v_cndmask_b32_e32 v35, v35, v15, vcc
	v_cmp_gt_f32_e32 vcc, v15, v1
	v_cndmask_b32_e32 v1, v1, v15, vcc
	v_cmp_lt_f32_e32 vcc, v16, v35
	v_cndmask_b32_e32 v35, v35, v16, vcc
	v_cmp_gt_f32_e32 vcc, v16, v1
	v_cndmask_b32_e32 v1, v1, v16, vcc
	v_cmp_lt_f32_e32 vcc, v17, v35
	v_cndmask_b32_e32 v35, v35, v17, vcc
	v_cmp_gt_f32_e32 vcc, v17, v1
	v_cndmask_b32_e32 v1, v1, v17, vcc
	s_waitcnt vmcnt(4)
	v_cmp_lt_f32_e32 vcc, v6, v35
	v_cndmask_b32_e32 v35, v35, v6, vcc
	v_cmp_gt_f32_e32 vcc, v6, v1
	v_cndmask_b32_e32 v1, v1, v6, vcc
	v_cmp_lt_f32_e32 vcc, v7, v35
	v_cndmask_b32_e32 v35, v35, v7, vcc
	v_cmp_gt_f32_e32 vcc, v7, v1
	v_cndmask_b32_e32 v1, v1, v7, vcc
	v_cmp_lt_f32_e32 vcc, v8, v35
	v_cndmask_b32_e32 v35, v35, v8, vcc
	v_cmp_gt_f32_e32 vcc, v8, v1
	v_cndmask_b32_e32 v1, v1, v8, vcc
	v_cmp_lt_f32_e32 vcc, v9, v35
	v_cndmask_b32_e32 v35, v35, v9, vcc
	v_cmp_gt_f32_e32 vcc, v9, v1
	v_cndmask_b32_e32 v1, v1, v9, vcc
	v_cmp_lt_f32_e32 vcc, v2, v35
	v_cndmask_b32_e32 v35, v35, v2, vcc
	v_cmp_gt_f32_e32 vcc, v2, v1
	v_cndmask_b32_e32 v1, v1, v2, vcc
	v_cmp_lt_f32_e32 vcc, v3, v35
	v_cndmask_b32_e32 v35, v35, v3, vcc
	v_cmp_gt_f32_e32 vcc, v3, v1
	v_cndmask_b32_e32 v1, v1, v3, vcc
	v_cmp_lt_f32_e32 vcc, v4, v35
	v_cndmask_b32_e32 v35, v35, v4, vcc
	v_cmp_gt_f32_e32 vcc, v4, v1
	v_cndmask_b32_e32 v1, v1, v4, vcc
	v_cmp_lt_f32_e32 vcc, v5, v35
	v_cndmask_b32_e32 v35, v35, v5, vcc
	v_cmp_gt_f32_e32 vcc, v5, v1
	v_cndmask_b32_e32 v1, v1, v5, vcc
	s_waitcnt vmcnt(2)
	v_cmp_lt_f32_e32 vcc, v30, v35
	v_cndmask_b32_e32 v35, v35, v30, vcc
	v_cmp_gt_f32_e32 vcc, v30, v1
	v_cndmask_b32_e32 v1, v1, v30, vcc
	v_cmp_lt_f32_e32 vcc, v31, v35
	v_cndmask_b32_e32 v35, v35, v31, vcc
	v_cmp_gt_f32_e32 vcc, v31, v1
	v_cndmask_b32_e32 v1, v1, v31, vcc
	v_cmp_lt_f32_e32 vcc, v32, v35
	v_cndmask_b32_e32 v35, v35, v32, vcc
	v_cmp_gt_f32_e32 vcc, v32, v1
	v_cndmask_b32_e32 v1, v1, v32, vcc
	v_cmp_lt_f32_e32 vcc, v33, v35
	v_cndmask_b32_e32 v35, v35, v33, vcc
	;; [unrolled: 33-line block ×3, first 2 shown]
	v_cmp_gt_f32_e32 vcc, v21, v1
	v_cndmask_b32_e32 v1, v1, v21, vcc
	v_cmp_lt_f32_e32 vcc, v10, v35
	v_cndmask_b32_e32 v35, v35, v10, vcc
	v_cmp_gt_f32_e32 vcc, v10, v1
	v_cndmask_b32_e32 v1, v1, v10, vcc
	v_cmp_lt_f32_e32 vcc, v11, v35
	v_cndmask_b32_e32 v35, v35, v11, vcc
	;; [unrolled: 4-line block ×4, first 2 shown]
	v_cmp_gt_f32_e32 vcc, v13, v1
	v_cndmask_b32_e32 v1, v1, v13, vcc
	v_sub_f32_e32 v1, v1, v36
	s_mov_b32 s2, 0x41700000
	v_div_scale_f32 v37, s[0:1], s2, s2, v1
	v_rcp_f32_e32 v40, v37
	v_mad_u64_u32 v[38:39], s[0:1], v39, 20, v[38:39]
	v_mov_b32_e32 v35, v38
	v_fma_f32 v38, -v37, v40, 1.0
	v_fmac_f32_e32 v40, v38, v40
	v_div_scale_f32 v38, vcc, v1, s2, v1
	v_mul_f32_e32 v39, v38, v40
	v_fma_f32 v41, -v37, v39, v38
	v_fmac_f32_e32 v39, v41, v40
	v_fma_f32 v37, -v37, v39, v38
	v_div_fmas_f32 v37, v37, v40, v39
	v_div_fixup_f32 v37, v37, s2, v1
	v_div_scale_f32 v38, s[0:1], v37, v37, 1.0
	v_rcp_f32_e32 v39, v38
	v_lshrrev_b32_e32 v0, 5, v0
	v_mad_u64_u32 v[0:1], s[0:1], v0, 20, v[34:35]
	v_fma_f32 v34, -v38, v39, 1.0
	v_fmac_f32_e32 v39, v34, v39
	v_div_scale_f32 v34, vcc, 1.0, v37, 1.0
	v_mul_f32_e32 v35, v34, v39
	v_fma_f32 v40, -v38, v35, v34
	v_fmac_f32_e32 v35, v40, v39
	v_fma_f32 v34, -v38, v35, v34
	v_div_fmas_f32 v34, v34, v39, v35
	v_div_fixup_f32 v34, v34, v37, 1.0
	v_cmp_neq_f32_e32 vcc, 0, v37
	v_cndmask_b32_e32 v34, 0, v34, vcc
	v_sub_f32_e32 v22, v22, v36
	v_fma_f32 v22, v22, v34, 0.5
	v_cvt_i32_f32_e32 v22, v22
	v_sub_f32_e32 v30, v30, v36
	s_mov_b32 s0, 0
	s_mov_b32 s1, 0x402e0000
	v_cvt_f64_i32_e32 v[38:39], v22
	v_fma_f32 v22, v30, v34, 0.5
	v_cvt_i32_f32_e32 v22, v22
	v_min_f64 v[38:39], v[38:39], s[0:1]
	v_cvt_i32_f64_e32 v30, v[38:39]
	v_cvt_f16_f32_e32 v35, v37
	v_cvt_f64_i32_e32 v[38:39], v22
	v_cvt_f16_f32_e32 v37, v36
	v_min_f64 v[38:39], v[38:39], s[0:1]
	v_cvt_i32_f64_e32 v22, v[38:39]
	v_sub_f32_e32 v23, v23, v36
	v_lshlrev_b16_e32 v22, 4, v22
	v_fma_f32 v23, v23, v34, 0.5
	v_or_b32_e32 v22, v22, v30
	v_cvt_i32_f32_e32 v23, v23
	v_sub_f32_e32 v30, v31, v36
	v_pack_b32_f16 v35, v35, v37
	v_fma_f32 v30, v30, v34, 0.5
	global_store_dword v[0:1], v35, off
	v_cvt_i32_f32_e32 v35, v30
	v_cvt_f64_i32_e32 v[30:31], v23
	v_min_f64 v[30:31], v[30:31], s[0:1]
	v_cvt_i32_f64_e32 v23, v[30:31]
	v_cvt_f64_i32_e32 v[30:31], v35
	v_sub_f32_e32 v24, v24, v36
	v_min_f64 v[30:31], v[30:31], s[0:1]
	v_fma_f32 v24, v24, v34, 0.5
	v_cvt_i32_f64_e32 v30, v[30:31]
	v_cvt_i32_f32_e32 v24, v24
	v_sub_f32_e32 v31, v32, v36
	v_fma_f32 v31, v31, v34, 0.5
	v_cvt_i32_f32_e32 v31, v31
	v_cvt_f64_i32_e32 v[38:39], v24
	v_min_f64 v[38:39], v[38:39], s[0:1]
	v_cvt_i32_f64_e32 v24, v[38:39]
	v_cvt_f64_i32_e32 v[38:39], v31
	v_min_f64 v[38:39], v[38:39], s[0:1]
	v_cvt_i32_f64_e32 v31, v[38:39]
	v_lshlrev_b16_e32 v31, 4, v31
	v_or_b32_e32 v31, v31, v24
	v_sub_f32_e32 v24, v25, v36
	v_fma_f32 v24, v24, v34, 0.5
	v_cvt_i32_f32_e32 v24, v24
	v_sub_f32_e32 v25, v33, v36
	v_fma_f32 v25, v25, v34, 0.5
	v_cvt_i32_f32_e32 v32, v25
	v_cvt_f64_i32_e32 v[24:25], v24
	v_min_f64 v[24:25], v[24:25], s[0:1]
	v_cvt_i32_f64_e32 v33, v[24:25]
	v_cvt_f64_i32_e32 v[24:25], v32
	v_sub_f32_e32 v14, v14, v36
	v_min_f64 v[24:25], v[24:25], s[0:1]
	v_fma_f32 v14, v14, v34, 0.5
	v_cvt_i32_f64_e32 v32, v[24:25]
	v_cvt_i32_f32_e32 v14, v14
	v_sub_f32_e32 v24, v26, v36
	v_fma_f32 v24, v24, v34, 0.5
	v_cvt_i32_f32_e32 v26, v24
	v_cvt_f64_i32_e32 v[24:25], v14
	v_min_f64 v[24:25], v[24:25], s[0:1]
	v_cvt_i32_f64_e32 v14, v[24:25]
	v_cvt_f64_i32_e32 v[24:25], v26
	v_min_f64 v[24:25], v[24:25], s[0:1]
	v_cvt_i32_f64_e32 v24, v[24:25]
	v_lshlrev_b16_e32 v24, 4, v24
	v_or_b32_e32 v24, v24, v14
	v_sub_f32_e32 v14, v15, v36
	v_fma_f32 v14, v14, v34, 0.5
	v_cvt_i32_f32_e32 v14, v14
	v_sub_f32_e32 v15, v27, v36
	v_fma_f32 v15, v15, v34, 0.5
	v_cvt_i32_f32_e32 v25, v15
	v_cvt_f64_i32_e32 v[14:15], v14
	v_min_f64 v[14:15], v[14:15], s[0:1]
	v_cvt_i32_f64_e32 v26, v[14:15]
	v_cvt_f64_i32_e32 v[14:15], v25
	v_min_f64 v[14:15], v[14:15], s[0:1]
	v_cvt_i32_f64_e32 v25, v[14:15]
	v_sub_f32_e32 v14, v16, v36
	v_fma_f32 v14, v14, v34, 0.5
	v_cvt_i32_f32_e32 v14, v14
	v_sub_f32_e32 v15, v28, v36
	v_fma_f32 v15, v15, v34, 0.5
	v_cvt_i32_f32_e32 v16, v15
	v_cvt_f64_i32_e32 v[14:15], v14
	v_min_f64 v[14:15], v[14:15], s[0:1]
	v_cvt_i32_f64_e32 v27, v[14:15]
	v_cvt_f64_i32_e32 v[14:15], v16
	v_min_f64 v[14:15], v[14:15], s[0:1]
	v_cvt_i32_f64_e32 v14, v[14:15]
	v_lshlrev_b16_e32 v14, 4, v14
	v_or_b32_e32 v16, v14, v27
	v_sub_f32_e32 v14, v17, v36
	v_fma_f32 v14, v14, v34, 0.5
	v_cvt_i32_f32_e32 v14, v14
	v_sub_f32_e32 v15, v29, v36
	v_fma_f32 v15, v15, v34, 0.5
	v_cvt_i32_f32_e32 v17, v15
	v_cvt_f64_i32_e32 v[14:15], v14
	v_min_f64 v[14:15], v[14:15], s[0:1]
	v_cvt_i32_f64_e32 v27, v[14:15]
	v_cvt_f64_i32_e32 v[14:15], v17
	v_sub_f32_e32 v6, v6, v36
	v_min_f64 v[14:15], v[14:15], s[0:1]
	v_fma_f32 v6, v6, v34, 0.5
	v_cvt_i32_f64_e32 v17, v[14:15]
	v_cvt_i32_f32_e32 v6, v6
	v_sub_f32_e32 v14, v18, v36
	v_fma_f32 v14, v14, v34, 0.5
	v_cvt_i32_f32_e32 v18, v14
	v_cvt_f64_i32_e32 v[14:15], v6
	v_min_f64 v[14:15], v[14:15], s[0:1]
	v_cvt_i32_f64_e32 v6, v[14:15]
	v_cvt_f64_i32_e32 v[14:15], v18
	v_min_f64 v[14:15], v[14:15], s[0:1]
	v_cvt_i32_f64_e32 v14, v[14:15]
	v_lshlrev_b16_e32 v14, 4, v14
	v_or_b32_e32 v14, v14, v6
	v_sub_f32_e32 v6, v7, v36
	v_fma_f32 v6, v6, v34, 0.5
	v_cvt_i32_f32_e32 v6, v6
	v_sub_f32_e32 v7, v19, v36
	v_fma_f32 v7, v7, v34, 0.5
	v_cvt_i32_f32_e32 v15, v7
	v_cvt_f64_i32_e32 v[6:7], v6
	v_min_f64 v[6:7], v[6:7], s[0:1]
	v_cvt_i32_f64_e32 v18, v[6:7]
	v_cvt_f64_i32_e32 v[6:7], v15
	v_min_f64 v[6:7], v[6:7], s[0:1]
	v_cvt_i32_f64_e32 v15, v[6:7]
	v_sub_f32_e32 v6, v8, v36
	v_fma_f32 v6, v6, v34, 0.5
	;; [unrolled: 52-line block ×3, first 2 shown]
	v_cvt_i32_f32_e32 v2, v2
	v_sub_f32_e32 v3, v12, v36
	v_fma_f32 v3, v3, v34, 0.5
	v_cvt_i32_f32_e32 v4, v3
	v_cvt_f64_i32_e32 v[2:3], v2
	v_min_f64 v[2:3], v[2:3], s[0:1]
	v_cvt_i32_f64_e32 v11, v[2:3]
	v_cvt_f64_i32_e32 v[2:3], v4
	v_min_f64 v[2:3], v[2:3], s[0:1]
	v_cvt_i32_f64_e32 v2, v[2:3]
	v_lshlrev_b16_e32 v2, 4, v2
	v_or_b32_e32 v4, v2, v11
	v_sub_f32_e32 v2, v5, v36
	v_fma_f32 v2, v2, v34, 0.5
	v_cvt_i32_f32_e32 v2, v2
	v_sub_f32_e32 v3, v13, v36
	v_fma_f32 v3, v3, v34, 0.5
	v_cvt_i32_f32_e32 v5, v3
	v_cvt_f64_i32_e32 v[2:3], v2
	v_min_f64 v[2:3], v[2:3], s[0:1]
	v_cvt_i32_f64_e32 v11, v[2:3]
	v_cvt_f64_i32_e32 v[2:3], v5
	v_min_f64 v[2:3], v[2:3], s[0:1]
	v_cvt_i32_f64_e32 v2, v[2:3]
	v_lshlrev_b16_e32 v3, 8, v10
	v_lshlrev_b16_e32 v5, 12, v7
	v_or_b32_e32 v3, v5, v3
	v_lshlrev_b16_e32 v5, 8, v11
	v_lshlrev_b16_e32 v2, 12, v2
	v_or_b32_e32 v2, v2, v5
	v_or_b32_sdwa v3, v6, v3 dst_sel:DWORD dst_unused:UNUSED_PAD src0_sel:BYTE_0 src1_sel:DWORD
	v_or_b32_sdwa v2, v4, v2 dst_sel:WORD_1 dst_unused:UNUSED_PAD src0_sel:BYTE_0 src1_sel:DWORD
	v_or_b32_sdwa v5, v3, v2 dst_sel:DWORD dst_unused:UNUSED_PAD src0_sel:WORD_0 src1_sel:DWORD
	v_lshlrev_b16_e32 v2, 8, v18
	v_lshlrev_b16_e32 v3, 12, v15
	v_or_b32_e32 v2, v3, v2
	v_lshlrev_b16_e32 v3, 8, v19
	v_lshlrev_b16_e32 v4, 12, v9
	v_or_b32_e32 v3, v4, v3
	v_or_b32_sdwa v2, v14, v2 dst_sel:DWORD dst_unused:UNUSED_PAD src0_sel:BYTE_0 src1_sel:DWORD
	v_or_b32_sdwa v3, v8, v3 dst_sel:WORD_1 dst_unused:UNUSED_PAD src0_sel:BYTE_0 src1_sel:DWORD
	v_or_b32_sdwa v4, v2, v3 dst_sel:DWORD dst_unused:UNUSED_PAD src0_sel:WORD_0 src1_sel:DWORD
	;; [unrolled: 9-line block ×4, first 2 shown]
	global_store_dwordx4 v[0:1], v[2:5], off offset:4
.LBB4_2:
	s_endpgm
	.section	.rodata,"a",@progbits
	.p2align	6, 0x0
	.amdhsa_kernel _ZL16k_set_rows_quantIl10block_q4_1Li32ETnPFvPKfPT0_EXadL_ZL23quantize_f32_q4_1_blockS2_PS0_EEEvS2_PKT_S4_llllllllllllll15HIP_vector_typeIjLj3EESC_SC_SC_SC_
		.amdhsa_group_segment_fixed_size 0
		.amdhsa_private_segment_fixed_size 0
		.amdhsa_kernarg_size 456
		.amdhsa_user_sgpr_count 6
		.amdhsa_user_sgpr_private_segment_buffer 1
		.amdhsa_user_sgpr_dispatch_ptr 0
		.amdhsa_user_sgpr_queue_ptr 0
		.amdhsa_user_sgpr_kernarg_segment_ptr 1
		.amdhsa_user_sgpr_dispatch_id 0
		.amdhsa_user_sgpr_flat_scratch_init 0
		.amdhsa_user_sgpr_kernarg_preload_length 0
		.amdhsa_user_sgpr_kernarg_preload_offset 0
		.amdhsa_user_sgpr_private_segment_size 0
		.amdhsa_uses_dynamic_stack 0
		.amdhsa_system_sgpr_private_segment_wavefront_offset 0
		.amdhsa_system_sgpr_workgroup_id_x 1
		.amdhsa_system_sgpr_workgroup_id_y 0
		.amdhsa_system_sgpr_workgroup_id_z 0
		.amdhsa_system_sgpr_workgroup_info 0
		.amdhsa_system_vgpr_workitem_id 0
		.amdhsa_next_free_vgpr 42
		.amdhsa_next_free_sgpr 40
		.amdhsa_accum_offset 44
		.amdhsa_reserve_vcc 1
		.amdhsa_reserve_flat_scratch 0
		.amdhsa_float_round_mode_32 0
		.amdhsa_float_round_mode_16_64 0
		.amdhsa_float_denorm_mode_32 3
		.amdhsa_float_denorm_mode_16_64 3
		.amdhsa_dx10_clamp 1
		.amdhsa_ieee_mode 1
		.amdhsa_fp16_overflow 0
		.amdhsa_tg_split 0
		.amdhsa_exception_fp_ieee_invalid_op 0
		.amdhsa_exception_fp_denorm_src 0
		.amdhsa_exception_fp_ieee_div_zero 0
		.amdhsa_exception_fp_ieee_overflow 0
		.amdhsa_exception_fp_ieee_underflow 0
		.amdhsa_exception_fp_ieee_inexact 0
		.amdhsa_exception_int_div_zero 0
	.end_amdhsa_kernel
	.section	.text._ZL16k_set_rows_quantIl10block_q4_1Li32ETnPFvPKfPT0_EXadL_ZL23quantize_f32_q4_1_blockS2_PS0_EEEvS2_PKT_S4_llllllllllllll15HIP_vector_typeIjLj3EESC_SC_SC_SC_,"axG",@progbits,_ZL16k_set_rows_quantIl10block_q4_1Li32ETnPFvPKfPT0_EXadL_ZL23quantize_f32_q4_1_blockS2_PS0_EEEvS2_PKT_S4_llllllllllllll15HIP_vector_typeIjLj3EESC_SC_SC_SC_,comdat
.Lfunc_end4:
	.size	_ZL16k_set_rows_quantIl10block_q4_1Li32ETnPFvPKfPT0_EXadL_ZL23quantize_f32_q4_1_blockS2_PS0_EEEvS2_PKT_S4_llllllllllllll15HIP_vector_typeIjLj3EESC_SC_SC_SC_, .Lfunc_end4-_ZL16k_set_rows_quantIl10block_q4_1Li32ETnPFvPKfPT0_EXadL_ZL23quantize_f32_q4_1_blockS2_PS0_EEEvS2_PKT_S4_llllllllllllll15HIP_vector_typeIjLj3EESC_SC_SC_SC_
                                        ; -- End function
	.section	.AMDGPU.csdata,"",@progbits
; Kernel info:
; codeLenInByte = 3072
; NumSgprs: 44
; NumVgprs: 42
; NumAgprs: 0
; TotalNumVgprs: 42
; ScratchSize: 0
; MemoryBound: 0
; FloatMode: 240
; IeeeMode: 1
; LDSByteSize: 0 bytes/workgroup (compile time only)
; SGPRBlocks: 5
; VGPRBlocks: 5
; NumSGPRsForWavesPerEU: 44
; NumVGPRsForWavesPerEU: 42
; AccumOffset: 44
; Occupancy: 8
; WaveLimiterHint : 1
; COMPUTE_PGM_RSRC2:SCRATCH_EN: 0
; COMPUTE_PGM_RSRC2:USER_SGPR: 6
; COMPUTE_PGM_RSRC2:TRAP_HANDLER: 0
; COMPUTE_PGM_RSRC2:TGID_X_EN: 1
; COMPUTE_PGM_RSRC2:TGID_Y_EN: 0
; COMPUTE_PGM_RSRC2:TGID_Z_EN: 0
; COMPUTE_PGM_RSRC2:TIDIG_COMP_CNT: 0
; COMPUTE_PGM_RSRC3_GFX90A:ACCUM_OFFSET: 10
; COMPUTE_PGM_RSRC3_GFX90A:TG_SPLIT: 0
	.section	.text._ZL16k_set_rows_quantIl10block_q5_0Li32ETnPFvPKfPT0_EXadL_ZL23quantize_f32_q5_0_blockS2_PS0_EEEvS2_PKT_S4_llllllllllllll15HIP_vector_typeIjLj3EESC_SC_SC_SC_,"axG",@progbits,_ZL16k_set_rows_quantIl10block_q5_0Li32ETnPFvPKfPT0_EXadL_ZL23quantize_f32_q5_0_blockS2_PS0_EEEvS2_PKT_S4_llllllllllllll15HIP_vector_typeIjLj3EESC_SC_SC_SC_,comdat
	.globl	_ZL16k_set_rows_quantIl10block_q5_0Li32ETnPFvPKfPT0_EXadL_ZL23quantize_f32_q5_0_blockS2_PS0_EEEvS2_PKT_S4_llllllllllllll15HIP_vector_typeIjLj3EESC_SC_SC_SC_ ; -- Begin function _ZL16k_set_rows_quantIl10block_q5_0Li32ETnPFvPKfPT0_EXadL_ZL23quantize_f32_q5_0_blockS2_PS0_EEEvS2_PKT_S4_llllllllllllll15HIP_vector_typeIjLj3EESC_SC_SC_SC_
	.p2align	8
	.type	_ZL16k_set_rows_quantIl10block_q5_0Li32ETnPFvPKfPT0_EXadL_ZL23quantize_f32_q5_0_blockS2_PS0_EEEvS2_PKT_S4_llllllllllllll15HIP_vector_typeIjLj3EESC_SC_SC_SC_,@function
_ZL16k_set_rows_quantIl10block_q5_0Li32ETnPFvPKfPT0_EXadL_ZL23quantize_f32_q5_0_blockS2_PS0_EEEvS2_PKT_S4_llllllllllllll15HIP_vector_typeIjLj3EESC_SC_SC_SC_: ; @_ZL16k_set_rows_quantIl10block_q5_0Li32ETnPFvPKfPT0_EXadL_ZL23quantize_f32_q5_0_blockS2_PS0_EEEvS2_PKT_S4_llllllllllllll15HIP_vector_typeIjLj3EESC_SC_SC_SC_
; %bb.0:
	s_load_dword s2, s[4:5], 0xd4
	s_load_dwordx2 s[0:1], s[4:5], 0x18
	v_mov_b32_e32 v1, 0
	v_mov_b32_e32 v2, s6
	s_waitcnt lgkmcnt(0)
	s_and_b32 s2, s2, 0xffff
	v_mad_u64_u32 v[2:3], s[2:3], s2, v2, v[0:1]
	v_cmp_gt_i64_e32 vcc, s[0:1], v[2:3]
	s_and_saveexec_b64 s[0:1], vcc
	s_cbranch_execz .LBB5_4
; %bb.1:
	s_load_dwordx4 s[36:39], s[4:5], 0x0
	s_load_dwordx2 s[6:7], s[4:5], 0x10
	s_load_dwordx16 s[8:23], s[4:5], 0x40
	s_load_dwordx8 s[24:31], s[4:5], 0x88
	s_load_dword s33, s[4:5], 0xc0
	s_load_dwordx2 s[34:35], s[4:5], 0xb8
	s_load_dwordx4 s[0:3], s[4:5], 0xa8
	v_lshlrev_b32_e32 v6, 5, v2
	s_waitcnt lgkmcnt(0)
	v_mul_hi_u32 v0, s24, v6
	v_add_u32_e32 v0, v6, v0
	v_lshrrev_b32_e32 v7, s25, v0
	v_mul_hi_u32 v0, v7, s27
	v_add_u32_e32 v0, v7, v0
	v_lshrrev_b32_e32 v0, s28, v0
	v_mul_lo_u32 v2, v0, s29
	v_sub_u32_e32 v10, v7, v2
	v_mul_hi_u32 v2, v0, s30
	v_add_u32_e32 v2, v0, v2
	v_lshrrev_b32_e32 v18, s31, v2
	v_mul_lo_u32 v2, v18, s0
	v_sub_u32_e32 v19, v0, v2
	;; [unrolled: 5-line block ×3, first 2 shown]
	v_mul_hi_u32 v0, v19, s1
	v_add_u32_e32 v0, v19, v0
	v_lshrrev_b32_e32 v0, s2, v0
	v_mul_lo_u32 v0, v0, s3
	v_mad_u64_u32 v[2:3], s[0:1], v10, s14, 0
	v_sub_u32_e32 v9, v19, v0
	v_mov_b32_e32 v0, v3
	v_mad_u64_u32 v[4:5], s[0:1], v10, s15, v[0:1]
	v_mov_b32_e32 v3, v4
	v_lshlrev_b64 v[2:3], 3, v[2:3]
	v_mov_b32_e32 v0, s39
	v_add_co_u32_e32 v11, vcc, s38, v2
	v_addc_co_u32_e32 v12, vcc, v0, v3, vcc
	v_mad_u64_u32 v[2:3], s[0:1], v9, s16, 0
	v_mov_b32_e32 v0, v3
	v_mad_u64_u32 v[4:5], s[0:1], v9, s17, v[0:1]
	v_mov_b32_e32 v3, v4
	v_lshlrev_b64 v[2:3], 3, v[2:3]
	v_add_co_u32_e32 v9, vcc, v11, v2
	v_addc_co_u32_e32 v11, vcc, v12, v3, vcc
	v_mad_u64_u32 v[2:3], s[0:1], v8, s18, 0
	v_mov_b32_e32 v0, v3
	v_mad_u64_u32 v[4:5], s[0:1], v8, s19, v[0:1]
	v_mov_b32_e32 v3, v4
	v_lshlrev_b64 v[2:3], 3, v[2:3]
	v_add_co_u32_e32 v2, vcc, v9, v2
	v_addc_co_u32_e32 v3, vcc, v11, v3, vcc
	global_load_dwordx2 v[2:3], v[2:3], off
	s_load_dwordx2 s[0:1], s[4:5], 0x80
	v_mul_lo_u32 v0, v7, s26
	v_mad_u64_u32 v[4:5], s[4:5], v10, s8, 0
	v_sub_u32_e32 v0, v6, v0
	v_mov_b32_e32 v6, v5
	v_mad_u64_u32 v[6:7], s[4:5], v10, s9, v[6:7]
	v_mad_u64_u32 v[8:9], s[4:5], v18, s12, 0
	v_mov_b32_e32 v5, v6
	v_mad_u64_u32 v[6:7], s[4:5], v19, s10, 0
	v_mov_b32_e32 v10, v9
	v_lshlrev_b64 v[12:13], 2, v[4:5]
	v_mov_b32_e32 v4, v7
	v_mad_u64_u32 v[10:11], s[4:5], v18, s13, v[10:11]
	v_mad_u64_u32 v[4:5], s[4:5], v19, s11, v[4:5]
	v_mov_b32_e32 v14, s37
	v_mov_b32_e32 v9, v10
	v_add_co_u32_e32 v10, vcc, s36, v12
	v_mov_b32_e32 v7, v4
	v_addc_co_u32_e32 v11, vcc, v14, v13, vcc
	v_lshlrev_b64 v[16:17], 2, v[6:7]
	v_add_co_u32_e32 v4, vcc, v10, v16
	v_lshlrev_b64 v[14:15], 2, v[8:9]
	v_addc_co_u32_e32 v5, vcc, v11, v17, vcc
	v_add_co_u32_e32 v6, vcc, v4, v14
	v_addc_co_u32_e32 v7, vcc, v5, v15, vcc
	s_mov_b32 s3, 0
	s_waitcnt vmcnt(0)
	v_mul_lo_u32 v4, v3, s20
	v_mul_lo_u32 v5, v2, s21
	v_mad_u64_u32 v[2:3], s[4:5], v2, s20, 0
	v_add3_u32 v3, v3, v5, v4
	s_waitcnt lgkmcnt(0)
	v_mad_u64_u32 v[2:3], s[4:5], v18, s0, v[2:3]
	v_mov_b32_e32 v4, v3
	v_mad_u64_u32 v[4:5], s[0:1], v18, s1, v[4:5]
	v_mov_b32_e32 v3, v4
	;; [unrolled: 2-line block ×3, first 2 shown]
	v_mad_u64_u32 v[30:31], s[0:1], v19, s23, v[2:3]
	v_lshlrev_b64 v[18:19], 2, v[0:1]
	s_add_u32 s0, 0, 0x2e8b0a00
	v_add_co_u32_e32 v10, vcc, v6, v18
	s_addc_u32 s1, 0, 42
	v_addc_co_u32_e32 v11, vcc, v7, v19, vcc
	s_add_i32 s1, s1, 0xba2e890
	s_mul_hi_u32 s8, s0, 0xffffffea
	global_load_dwordx4 v[6:9], v[10:11], off offset:16
	global_load_dwordx4 v[20:23], v[10:11], off
	s_sub_i32 s8, s8, s0
	s_mul_i32 s9, s1, 0xffffffea
	s_mul_i32 s2, s0, 0xffffffea
	s_add_i32 s8, s8, s9
	s_mul_hi_u32 s4, s1, s2
	s_mul_i32 s5, s1, s2
	s_mul_i32 s10, s0, s8
	s_mul_hi_u32 s2, s0, s2
	s_mul_hi_u32 s9, s0, s8
	s_add_u32 s2, s2, s10
	s_addc_u32 s9, 0, s9
	s_add_u32 s2, s2, s5
	s_mul_hi_u32 s10, s1, s8
	s_addc_u32 s2, s9, s4
	s_addc_u32 s4, s10, 0
	s_mul_i32 s5, s1, s8
	s_add_u32 s2, s2, s5
	v_mov_b32_e32 v2, s2
	s_addc_u32 s4, 0, s4
	v_add_co_u32_e32 v4, vcc, s0, v2
	s_cmp_lg_u64 vcc, 0
	s_addc_u32 s2, s1, s4
	v_mad_u64_u32 v[2:3], s[0:1], v28, s2, 0
	v_mul_hi_u32 v5, v28, v4
	v_add_co_u32_e32 v29, vcc, v5, v2
	v_addc_co_u32_e32 v31, vcc, 0, v3, vcc
	v_mad_u64_u32 v[32:33], s[0:1], v30, v4, 0
	global_load_dwordx4 v[2:5], v[10:11], off offset:48
	global_load_dwordx4 v[24:27], v[10:11], off offset:32
	v_add_co_u32_e32 v29, vcc, v29, v32
	v_mad_u64_u32 v[34:35], s[0:1], v30, s2, 0
	v_addc_co_u32_e32 v29, vcc, v31, v33, vcc
	v_addc_co_u32_e32 v31, vcc, 0, v35, vcc
	v_add_co_u32_e32 v44, vcc, v29, v34
	v_mad_u64_u32 v[32:33], s[0:1], v44, 22, 0
	v_addc_co_u32_e32 v36, vcc, 0, v31, vcc
	v_mov_b32_e32 v34, v33
	v_mad_u64_u32 v[34:35], s[0:1], v36, 22, v[34:35]
	v_sub_co_u32_e32 v37, vcc, v28, v32
	v_subb_co_u32_e32 v38, vcc, v30, v34, vcc
	global_load_dwordx4 v[28:31], v[10:11], off offset:80
	global_load_dwordx4 v[32:35], v[10:11], off offset:64
	v_subrev_co_u32_e32 v39, vcc, 22, v37
	v_subbrev_co_u32_e32 v40, vcc, 0, v38, vcc
	v_cmp_lt_u32_e32 vcc, 21, v39
	v_cndmask_b32_e64 v39, 0, -1, vcc
	v_cmp_eq_u32_e32 vcc, 0, v40
	v_cndmask_b32_e32 v39, -1, v39, vcc
	v_add_co_u32_e32 v45, vcc, 2, v44
	v_addc_co_u32_e32 v40, vcc, 0, v36, vcc
	v_add_co_u32_e32 v46, vcc, 1, v44
	v_cmp_lt_u32_e64 s[0:1], 21, v37
	v_addc_co_u32_e32 v41, vcc, 0, v36, vcc
	v_cndmask_b32_e64 v37, 0, -1, s[0:1]
	v_cmp_eq_u32_e64 s[0:1], 0, v38
	v_cmp_ne_u32_e32 vcc, 0, v39
	v_cndmask_b32_e64 v37, -1, v37, s[0:1]
	v_cndmask_b32_e32 v39, v41, v40, vcc
	v_cmp_ne_u32_e64 s[0:1], 0, v37
	v_cndmask_b32_e64 v47, v36, v39, s[0:1]
	global_load_dwordx4 v[36:39], v[10:11], off offset:112
	global_load_dwordx4 v[40:43], v[10:11], off offset:96
	v_cndmask_b32_e32 v45, v46, v45, vcc
	s_waitcnt vmcnt(6)
	v_cmp_lg_f32_e32 vcc, 0, v20
	v_cndmask_b32_e32 v48, 0, v20, vcc
	v_cndmask_b32_e64 v20, 0, |v20|, vcc
	v_cmp_lt_f32_e64 vcc, v20, |v21|
	v_cndmask_b32_e64 v20, v20, |v21|, vcc
	v_cndmask_b32_e32 v48, v48, v21, vcc
	v_cmp_lt_f32_e64 vcc, v20, |v22|
	v_cndmask_b32_e64 v20, v20, |v22|, vcc
	v_cndmask_b32_e32 v21, v48, v22, vcc
	;; [unrolled: 3-line block ×3, first 2 shown]
	v_cmp_lt_f32_e64 vcc, v20, |v6|
	v_cndmask_b32_e32 v21, v21, v6, vcc
	v_cndmask_b32_e64 v6, v20, |v6|, vcc
	v_cmp_lt_f32_e64 vcc, v6, |v7|
	v_cndmask_b32_e64 v6, v6, |v7|, vcc
	v_cndmask_b32_e32 v20, v21, v7, vcc
	v_cmp_lt_f32_e64 vcc, v6, |v8|
	v_cndmask_b32_e64 v6, v6, |v8|, vcc
	v_cndmask_b32_e32 v7, v20, v8, vcc
	;; [unrolled: 3-line block ×3, first 2 shown]
	v_cndmask_b32_e64 v46, v44, v45, s[0:1]
	v_mad_u64_u32 v[44:45], s[0:1], v46, 22, s[6:7]
	v_mul_lo_u32 v47, v47, 22
	v_add_u32_e32 v45, v47, v45
	v_lshrrev_b32_e32 v0, 5, v0
	s_mov_b32 s4, 0
	s_waitcnt vmcnt(4)
	v_cmp_lt_f32_e64 vcc, v6, |v24|
	v_cndmask_b32_e64 v6, v6, |v24|, vcc
	v_cndmask_b32_e32 v7, v7, v24, vcc
	v_cmp_lt_f32_e64 vcc, v6, |v25|
	v_cndmask_b32_e64 v6, v6, |v25|, vcc
	v_cndmask_b32_e32 v7, v7, v25, vcc
	;; [unrolled: 3-line block ×4, first 2 shown]
	v_cmp_lt_f32_e64 vcc, v6, |v2|
	v_cndmask_b32_e32 v7, v7, v2, vcc
	v_cndmask_b32_e64 v2, v6, |v2|, vcc
	v_cmp_lt_f32_e64 vcc, v2, |v3|
	v_cndmask_b32_e64 v2, v2, |v3|, vcc
	v_cndmask_b32_e32 v6, v7, v3, vcc
	v_cmp_lt_f32_e64 vcc, v2, |v4|
	v_cndmask_b32_e64 v2, v2, |v4|, vcc
	v_cndmask_b32_e32 v3, v6, v4, vcc
	;; [unrolled: 3-line block ×3, first 2 shown]
	s_waitcnt vmcnt(2)
	v_cmp_lt_f32_e64 vcc, v2, |v32|
	v_cndmask_b32_e64 v2, v2, |v32|, vcc
	v_cndmask_b32_e32 v3, v3, v32, vcc
	v_cmp_lt_f32_e64 vcc, v2, |v33|
	v_cndmask_b32_e64 v2, v2, |v33|, vcc
	v_cndmask_b32_e32 v3, v3, v33, vcc
	v_cmp_lt_f32_e64 vcc, v2, |v34|
	v_cndmask_b32_e64 v2, v2, |v34|, vcc
	v_cndmask_b32_e32 v3, v3, v34, vcc
	v_cmp_lt_f32_e64 vcc, v2, |v35|
	v_cndmask_b32_e64 v2, v2, |v35|, vcc
	v_cndmask_b32_e32 v3, v3, v35, vcc
	v_cmp_lt_f32_e64 vcc, v2, |v28|
	v_cndmask_b32_e64 v2, v2, |v28|, vcc
	v_cndmask_b32_e32 v3, v3, v28, vcc
	v_cmp_lt_f32_e64 vcc, v2, |v29|
	v_cndmask_b32_e64 v2, v2, |v29|, vcc
	v_cndmask_b32_e32 v3, v3, v29, vcc
	v_cmp_lt_f32_e64 vcc, v2, |v30|
	v_cndmask_b32_e64 v2, v2, |v30|, vcc
	v_cndmask_b32_e32 v3, v3, v30, vcc
	v_cmp_lt_f32_e64 vcc, v2, |v31|
	v_cndmask_b32_e64 v2, v2, |v31|, vcc
	v_cndmask_b32_e32 v3, v3, v31, vcc
	s_waitcnt vmcnt(0)
	v_cmp_lt_f32_e64 vcc, v2, |v40|
	v_cndmask_b32_e64 v2, v2, |v40|, vcc
	v_cndmask_b32_e32 v3, v3, v40, vcc
	v_cmp_lt_f32_e64 vcc, v2, |v41|
	v_cndmask_b32_e64 v2, v2, |v41|, vcc
	v_cndmask_b32_e32 v3, v3, v41, vcc
	v_cmp_lt_f32_e64 vcc, v2, |v42|
	v_cndmask_b32_e64 v2, v2, |v42|, vcc
	v_cndmask_b32_e32 v3, v3, v42, vcc
	v_cmp_lt_f32_e64 vcc, v2, |v43|
	v_cndmask_b32_e64 v2, v2, |v43|, vcc
	v_cndmask_b32_e32 v3, v3, v43, vcc
	v_cmp_lt_f32_e64 vcc, v2, |v36|
	v_cndmask_b32_e64 v2, v2, |v36|, vcc
	v_cndmask_b32_e32 v3, v3, v36, vcc
	v_cmp_lt_f32_e64 vcc, v2, |v37|
	v_cndmask_b32_e64 v2, v2, |v37|, vcc
	v_cndmask_b32_e32 v3, v3, v37, vcc
	v_cmp_lt_f32_e64 vcc, v2, |v38|
	v_cndmask_b32_e64 v2, v2, |v38|, vcc
	v_cndmask_b32_e32 v3, v3, v38, vcc
	v_cmp_lt_f32_e64 vcc, v2, |v39|
	v_cndmask_b32_e32 v4, v3, v39, vcc
	v_mul_f32_e32 v5, 0xbd800000, v4
	v_div_scale_f32 v6, s[0:1], v5, v5, 1.0
	v_rcp_f32_e32 v7, v6
	v_mad_u64_u32 v[2:3], s[0:1], v0, 22, v[44:45]
	s_mov_b32 s0, 0xbd800000
	v_fma_f32 v8, -v6, v7, 1.0
	v_fmac_f32_e32 v7, v8, v7
	v_div_scale_f32 v8, vcc, 1.0, v5, 1.0
	v_mul_f32_e32 v9, v8, v7
	v_fma_f32 v20, -v6, v9, v8
	v_fmac_f32_e32 v9, v20, v7
	v_fma_f32 v6, -v6, v9, v8
	v_mul_lo_u32 v0, v0, 22
	v_div_fmas_f32 v6, v6, v7, v9
	v_fma_mixlo_f16 v4, v4, s0, 0
	v_div_fixup_f32 v6, v6, v5, 1.0
	v_cmp_neq_f32_e32 vcc, 0, v5
	global_store_short v[2:3], v4, off
	v_mad_u64_u32 v[4:5], s[0:1], v46, 22, v[0:1]
	v_cndmask_b32_e32 v6, 0, v6, vcc
	v_add_u32_e32 v5, v47, v5
	v_mov_b32_e32 v7, s7
	v_add_co_u32_e32 v0, vcc, s6, v4
	v_addc_co_u32_e32 v7, vcc, v7, v5, vcc
	v_add_co_u32_e32 v4, vcc, v14, v16
	v_addc_co_u32_e32 v5, vcc, v15, v17, vcc
	;; [unrolled: 2-line block ×4, first 2 shown]
	v_mov_b32_e32 v8, s37
	v_add_co_u32_e32 v4, vcc, s36, v4
	v_addc_co_u32_e32 v5, vcc, v5, v8, vcc
	v_add_co_u32_e32 v4, vcc, 64, v4
	v_addc_co_u32_e32 v5, vcc, 0, v5, vcc
	s_mov_b64 s[0:1], 0
	v_mov_b32_e32 v8, 0x41840000
	s_mov_b32 s5, 0x403f0000
	s_mov_b32 s6, 0x4020c0c
	v_mov_b32_e32 v9, 15
	v_mov_b32_e32 v13, 0
	;; [unrolled: 1-line block ×4, first 2 shown]
.LBB5_2:                                ; =>This Inner Loop Header: Depth=1
	global_load_dwordx2 v[16:17], v[4:5], off offset:-64
	global_load_dword v20, v[4:5], off
	s_or_b32 s2, s0, 17
	s_lshl_b64 s[8:9], s[2:3], 2
	v_mov_b32_e32 v15, s9
	v_add_co_u32_e32 v18, vcc, s8, v10
	v_addc_co_u32_e32 v19, vcc, v11, v15, vcc
	global_load_dword v18, v[18:19], off
	v_lshlrev_b32_e32 v19, 16, v14
	v_lshlrev_b32_e32 v13, 8, v13
	v_and_b32_e32 v1, 0xff, v1
	v_perm_b32 v12, v12, v19, s6
	v_and_b32_e32 v13, 0xff00, v13
	v_or3_b32 v1, v12, v13, v1
	s_add_i32 s7, s0, 16
	v_add_co_u32_e32 v4, vcc, 8, v4
	s_add_i32 s8, s0, 1
	v_addc_co_u32_e32 v5, vcc, 0, v5, vcc
	v_mov_b32_e32 v15, s1
	v_add_co_u32_e32 v14, vcc, s0, v0
	v_addc_co_u32_e32 v15, vcc, v7, v15, vcc
	s_waitcnt vmcnt(2)
	v_fma_f32 v12, v6, v16, v8
	s_waitcnt vmcnt(1)
	v_fma_f32 v13, v6, v20, v8
	v_fma_f32 v16, v6, v17, v8
	v_cvt_i32_f32_e32 v12, v12
	v_cvt_i32_f32_e32 v17, v13
	;; [unrolled: 1-line block ×3, first 2 shown]
	v_cvt_f64_i32_e32 v[12:13], v12
	v_cvt_f64_i32_e32 v[16:17], v17
	s_waitcnt vmcnt(0)
	v_fma_f32 v20, v6, v18, v8
	v_cvt_i32_f32_e32 v20, v20
	v_cvt_f64_i32_e32 v[18:19], v19
	v_min_f64 v[12:13], v[12:13], s[4:5]
	v_min_f64 v[16:17], v[16:17], s[4:5]
	;; [unrolled: 1-line block ×3, first 2 shown]
	v_cvt_i32_f64_e32 v12, v[12:13]
	v_cvt_i32_f64_e32 v13, v[16:17]
	v_cvt_i32_f64_e32 v16, v[18:19]
	v_and_b32_e32 v17, 15, v12
	v_lshlrev_b16_e32 v18, 4, v13
	v_lshrrev_b16_e32 v12, 4, v12
	v_lshrrev_b16_e32 v13, 4, v13
	v_or_b32_e32 v17, v18, v17
	v_and_b32_e32 v18, 1, v12
	v_and_b32_e32 v21, 1, v13
	v_cvt_f64_i32_e32 v[12:13], v20
	v_min_f64 v[12:13], v[12:13], s[4:5]
	v_and_b32_sdwa v19, v16, v9 dst_sel:BYTE_1 dst_unused:UNUSED_PAD src0_sel:DWORD src1_sel:DWORD
	v_lshrrev_b16_e32 v16, 4, v16
	v_cvt_i32_f64_e32 v12, v[12:13]
	v_and_b32_e32 v16, 1, v16
	v_lshlrev_b32_sdwa v18, s0, v18 dst_sel:DWORD dst_unused:UNUSED_PAD src0_sel:DWORD src1_sel:WORD_0
	v_lshlrev_b32_sdwa v20, s7, v21 dst_sel:DWORD dst_unused:UNUSED_PAD src0_sel:DWORD src1_sel:WORD_0
	v_lshlrev_b16_e32 v13, 12, v12
	v_lshrrev_b16_e32 v12, 4, v12
	v_and_b32_e32 v16, 0xffff, v16
	v_or3_b32 v1, v18, v1, v20
	v_and_b32_e32 v12, 1, v12
	s_add_u32 s0, s0, 2
	v_lshl_or_b32 v1, v16, s8, v1
	v_or_b32_e32 v16, v13, v19
	v_and_b32_e32 v12, 0xffff, v12
	s_addc_u32 s1, s1, 0
	v_or_b32_sdwa v16, v17, v16 dst_sel:DWORD dst_unused:UNUSED_PAD src0_sel:BYTE_0 src1_sel:DWORD
	v_lshl_or_b32 v12, v12, s2, v1
	s_cmp_lg_u32 s0, 16
	v_lshrrev_b32_e32 v13, 8, v1
	global_store_short v[14:15], v16, off offset:6
	v_lshrrev_b32_e32 v14, 16, v12
	v_lshrrev_b32_e32 v12, 24, v12
	s_cbranch_scc1 .LBB5_2
; %bb.3:
	v_lshlrev_b16_e32 v0, 8, v13
	v_or_b32_sdwa v0, v1, v0 dst_sel:DWORD dst_unused:UNUSED_PAD src0_sel:BYTE_0 src1_sel:DWORD
	v_lshlrev_b16_e32 v1, 8, v12
	v_or_b32_sdwa v1, v14, v1 dst_sel:WORD_1 dst_unused:UNUSED_PAD src0_sel:BYTE_0 src1_sel:DWORD
	v_or_b32_sdwa v0, v0, v1 dst_sel:DWORD dst_unused:UNUSED_PAD src0_sel:WORD_0 src1_sel:DWORD
	global_store_dword v[2:3], v0, off offset:2
.LBB5_4:
	s_endpgm
	.section	.rodata,"a",@progbits
	.p2align	6, 0x0
	.amdhsa_kernel _ZL16k_set_rows_quantIl10block_q5_0Li32ETnPFvPKfPT0_EXadL_ZL23quantize_f32_q5_0_blockS2_PS0_EEEvS2_PKT_S4_llllllllllllll15HIP_vector_typeIjLj3EESC_SC_SC_SC_
		.amdhsa_group_segment_fixed_size 0
		.amdhsa_private_segment_fixed_size 0
		.amdhsa_kernarg_size 456
		.amdhsa_user_sgpr_count 6
		.amdhsa_user_sgpr_private_segment_buffer 1
		.amdhsa_user_sgpr_dispatch_ptr 0
		.amdhsa_user_sgpr_queue_ptr 0
		.amdhsa_user_sgpr_kernarg_segment_ptr 1
		.amdhsa_user_sgpr_dispatch_id 0
		.amdhsa_user_sgpr_flat_scratch_init 0
		.amdhsa_user_sgpr_kernarg_preload_length 0
		.amdhsa_user_sgpr_kernarg_preload_offset 0
		.amdhsa_user_sgpr_private_segment_size 0
		.amdhsa_uses_dynamic_stack 0
		.amdhsa_system_sgpr_private_segment_wavefront_offset 0
		.amdhsa_system_sgpr_workgroup_id_x 1
		.amdhsa_system_sgpr_workgroup_id_y 0
		.amdhsa_system_sgpr_workgroup_id_z 0
		.amdhsa_system_sgpr_workgroup_info 0
		.amdhsa_system_vgpr_workitem_id 0
		.amdhsa_next_free_vgpr 49
		.amdhsa_next_free_sgpr 40
		.amdhsa_accum_offset 52
		.amdhsa_reserve_vcc 1
		.amdhsa_reserve_flat_scratch 0
		.amdhsa_float_round_mode_32 0
		.amdhsa_float_round_mode_16_64 0
		.amdhsa_float_denorm_mode_32 3
		.amdhsa_float_denorm_mode_16_64 3
		.amdhsa_dx10_clamp 1
		.amdhsa_ieee_mode 1
		.amdhsa_fp16_overflow 0
		.amdhsa_tg_split 0
		.amdhsa_exception_fp_ieee_invalid_op 0
		.amdhsa_exception_fp_denorm_src 0
		.amdhsa_exception_fp_ieee_div_zero 0
		.amdhsa_exception_fp_ieee_overflow 0
		.amdhsa_exception_fp_ieee_underflow 0
		.amdhsa_exception_fp_ieee_inexact 0
		.amdhsa_exception_int_div_zero 0
	.end_amdhsa_kernel
	.section	.text._ZL16k_set_rows_quantIl10block_q5_0Li32ETnPFvPKfPT0_EXadL_ZL23quantize_f32_q5_0_blockS2_PS0_EEEvS2_PKT_S4_llllllllllllll15HIP_vector_typeIjLj3EESC_SC_SC_SC_,"axG",@progbits,_ZL16k_set_rows_quantIl10block_q5_0Li32ETnPFvPKfPT0_EXadL_ZL23quantize_f32_q5_0_blockS2_PS0_EEEvS2_PKT_S4_llllllllllllll15HIP_vector_typeIjLj3EESC_SC_SC_SC_,comdat
.Lfunc_end5:
	.size	_ZL16k_set_rows_quantIl10block_q5_0Li32ETnPFvPKfPT0_EXadL_ZL23quantize_f32_q5_0_blockS2_PS0_EEEvS2_PKT_S4_llllllllllllll15HIP_vector_typeIjLj3EESC_SC_SC_SC_, .Lfunc_end5-_ZL16k_set_rows_quantIl10block_q5_0Li32ETnPFvPKfPT0_EXadL_ZL23quantize_f32_q5_0_blockS2_PS0_EEEvS2_PKT_S4_llllllllllllll15HIP_vector_typeIjLj3EESC_SC_SC_SC_
                                        ; -- End function
	.section	.AMDGPU.csdata,"",@progbits
; Kernel info:
; codeLenInByte = 2368
; NumSgprs: 44
; NumVgprs: 49
; NumAgprs: 0
; TotalNumVgprs: 49
; ScratchSize: 0
; MemoryBound: 0
; FloatMode: 240
; IeeeMode: 1
; LDSByteSize: 0 bytes/workgroup (compile time only)
; SGPRBlocks: 5
; VGPRBlocks: 6
; NumSGPRsForWavesPerEU: 44
; NumVGPRsForWavesPerEU: 49
; AccumOffset: 52
; Occupancy: 8
; WaveLimiterHint : 1
; COMPUTE_PGM_RSRC2:SCRATCH_EN: 0
; COMPUTE_PGM_RSRC2:USER_SGPR: 6
; COMPUTE_PGM_RSRC2:TRAP_HANDLER: 0
; COMPUTE_PGM_RSRC2:TGID_X_EN: 1
; COMPUTE_PGM_RSRC2:TGID_Y_EN: 0
; COMPUTE_PGM_RSRC2:TGID_Z_EN: 0
; COMPUTE_PGM_RSRC2:TIDIG_COMP_CNT: 0
; COMPUTE_PGM_RSRC3_GFX90A:ACCUM_OFFSET: 12
; COMPUTE_PGM_RSRC3_GFX90A:TG_SPLIT: 0
	.section	.text._ZL16k_set_rows_quantIl10block_q5_1Li32ETnPFvPKfPT0_EXadL_ZL23quantize_f32_q5_1_blockS2_PS0_EEEvS2_PKT_S4_llllllllllllll15HIP_vector_typeIjLj3EESC_SC_SC_SC_,"axG",@progbits,_ZL16k_set_rows_quantIl10block_q5_1Li32ETnPFvPKfPT0_EXadL_ZL23quantize_f32_q5_1_blockS2_PS0_EEEvS2_PKT_S4_llllllllllllll15HIP_vector_typeIjLj3EESC_SC_SC_SC_,comdat
	.globl	_ZL16k_set_rows_quantIl10block_q5_1Li32ETnPFvPKfPT0_EXadL_ZL23quantize_f32_q5_1_blockS2_PS0_EEEvS2_PKT_S4_llllllllllllll15HIP_vector_typeIjLj3EESC_SC_SC_SC_ ; -- Begin function _ZL16k_set_rows_quantIl10block_q5_1Li32ETnPFvPKfPT0_EXadL_ZL23quantize_f32_q5_1_blockS2_PS0_EEEvS2_PKT_S4_llllllllllllll15HIP_vector_typeIjLj3EESC_SC_SC_SC_
	.p2align	8
	.type	_ZL16k_set_rows_quantIl10block_q5_1Li32ETnPFvPKfPT0_EXadL_ZL23quantize_f32_q5_1_blockS2_PS0_EEEvS2_PKT_S4_llllllllllllll15HIP_vector_typeIjLj3EESC_SC_SC_SC_,@function
_ZL16k_set_rows_quantIl10block_q5_1Li32ETnPFvPKfPT0_EXadL_ZL23quantize_f32_q5_1_blockS2_PS0_EEEvS2_PKT_S4_llllllllllllll15HIP_vector_typeIjLj3EESC_SC_SC_SC_: ; @_ZL16k_set_rows_quantIl10block_q5_1Li32ETnPFvPKfPT0_EXadL_ZL23quantize_f32_q5_1_blockS2_PS0_EEEvS2_PKT_S4_llllllllllllll15HIP_vector_typeIjLj3EESC_SC_SC_SC_
; %bb.0:
	s_load_dword s2, s[4:5], 0xd4
	s_load_dwordx2 s[0:1], s[4:5], 0x18
	v_mov_b32_e32 v1, 0
	v_mov_b32_e32 v2, s6
	s_waitcnt lgkmcnt(0)
	s_and_b32 s2, s2, 0xffff
	v_mad_u64_u32 v[2:3], s[2:3], s2, v2, v[0:1]
	v_cmp_gt_i64_e32 vcc, s[0:1], v[2:3]
	s_and_saveexec_b64 s[0:1], vcc
	s_cbranch_execz .LBB6_4
; %bb.1:
	s_load_dwordx4 s[36:39], s[4:5], 0x0
	s_load_dwordx2 s[6:7], s[4:5], 0x10
	s_load_dwordx16 s[8:23], s[4:5], 0x40
	s_load_dwordx8 s[24:31], s[4:5], 0x88
	s_load_dword s33, s[4:5], 0xc0
	s_load_dwordx2 s[34:35], s[4:5], 0xb8
	s_load_dwordx4 s[0:3], s[4:5], 0xa8
	v_lshlrev_b32_e32 v6, 5, v2
	s_waitcnt lgkmcnt(0)
	v_mul_hi_u32 v0, s24, v6
	v_add_u32_e32 v0, v6, v0
	v_lshrrev_b32_e32 v7, s25, v0
	v_mul_hi_u32 v0, v7, s27
	v_add_u32_e32 v0, v7, v0
	v_lshrrev_b32_e32 v0, s28, v0
	v_mul_lo_u32 v2, v0, s29
	v_sub_u32_e32 v10, v7, v2
	v_mul_hi_u32 v2, v0, s30
	v_add_u32_e32 v2, v0, v2
	v_lshrrev_b32_e32 v12, s31, v2
	v_mul_lo_u32 v2, v12, s0
	v_sub_u32_e32 v13, v0, v2
	;; [unrolled: 5-line block ×3, first 2 shown]
	v_mul_hi_u32 v0, v13, s1
	v_add_u32_e32 v0, v13, v0
	v_lshrrev_b32_e32 v0, s2, v0
	v_mul_lo_u32 v0, v0, s3
	v_mad_u64_u32 v[2:3], s[0:1], v10, s14, 0
	v_sub_u32_e32 v9, v13, v0
	v_mov_b32_e32 v0, v3
	v_mad_u64_u32 v[4:5], s[0:1], v10, s15, v[0:1]
	v_mov_b32_e32 v3, v4
	v_lshlrev_b64 v[2:3], 3, v[2:3]
	v_mov_b32_e32 v0, s39
	v_add_co_u32_e32 v11, vcc, s38, v2
	v_addc_co_u32_e32 v14, vcc, v0, v3, vcc
	v_mad_u64_u32 v[2:3], s[0:1], v9, s16, 0
	v_mov_b32_e32 v0, v3
	v_mad_u64_u32 v[4:5], s[0:1], v9, s17, v[0:1]
	v_mov_b32_e32 v3, v4
	v_lshlrev_b64 v[2:3], 3, v[2:3]
	v_add_co_u32_e32 v9, vcc, v11, v2
	v_addc_co_u32_e32 v11, vcc, v14, v3, vcc
	v_mad_u64_u32 v[2:3], s[0:1], v8, s18, 0
	v_mov_b32_e32 v0, v3
	v_mad_u64_u32 v[4:5], s[0:1], v8, s19, v[0:1]
	v_mov_b32_e32 v3, v4
	v_lshlrev_b64 v[2:3], 3, v[2:3]
	v_add_co_u32_e32 v2, vcc, v9, v2
	v_addc_co_u32_e32 v3, vcc, v11, v3, vcc
	global_load_dwordx2 v[2:3], v[2:3], off
	s_load_dwordx2 s[0:1], s[4:5], 0x80
	v_mul_lo_u32 v0, v7, s26
	v_mad_u64_u32 v[4:5], s[4:5], v10, s8, 0
	v_sub_u32_e32 v0, v6, v0
	v_mov_b32_e32 v6, v5
	v_mad_u64_u32 v[6:7], s[4:5], v10, s9, v[6:7]
	v_mad_u64_u32 v[8:9], s[4:5], v12, s12, 0
	v_mov_b32_e32 v5, v6
	v_mad_u64_u32 v[6:7], s[4:5], v13, s10, 0
	v_mov_b32_e32 v10, v9
	v_lshlrev_b64 v[20:21], 2, v[4:5]
	v_mov_b32_e32 v4, v7
	v_mad_u64_u32 v[10:11], s[4:5], v12, s13, v[10:11]
	v_mad_u64_u32 v[4:5], s[4:5], v13, s11, v[4:5]
	v_mov_b32_e32 v14, s37
	v_mov_b32_e32 v9, v10
	v_add_co_u32_e32 v10, vcc, s36, v20
	v_mov_b32_e32 v7, v4
	v_addc_co_u32_e32 v11, vcc, v14, v21, vcc
	v_lshlrev_b64 v[24:25], 2, v[6:7]
	v_add_co_u32_e32 v4, vcc, v10, v24
	v_lshlrev_b64 v[22:23], 2, v[8:9]
	v_addc_co_u32_e32 v5, vcc, v11, v25, vcc
	v_add_co_u32_e32 v6, vcc, v4, v22
	v_addc_co_u32_e32 v7, vcc, v5, v23, vcc
	v_lshlrev_b64 v[26:27], 2, v[0:1]
	v_add_co_u32_e32 v18, vcc, v6, v26
	v_addc_co_u32_e32 v19, vcc, v7, v27, vcc
	global_load_dwordx4 v[6:9], v[18:19], off offset:16
	global_load_dwordx4 v[14:17], v[18:19], off
	v_lshrrev_b32_e32 v0, 5, v0
	s_mov_b32 s3, 0
	s_waitcnt vmcnt(2)
	v_mul_lo_u32 v4, v3, s20
	v_mul_lo_u32 v5, v2, s21
	v_mad_u64_u32 v[2:3], s[4:5], v2, s20, 0
	v_add3_u32 v3, v3, v5, v4
	s_waitcnt lgkmcnt(0)
	v_mad_u64_u32 v[2:3], s[4:5], v12, s0, v[2:3]
	v_mov_b32_e32 v4, v3
	v_mad_u64_u32 v[4:5], s[0:1], v12, s1, v[4:5]
	v_mov_b32_e32 v3, v4
	;; [unrolled: 2-line block ×3, first 2 shown]
	v_mad_u64_u32 v[30:31], s[0:1], v13, s23, v[2:3]
	s_add_u32 s0, 0, 0xaaaa0000
	s_addc_u32 s1, 0, 42
	s_add_i32 s1, s1, 0xaaaaa80
	s_mul_hi_u32 s8, s0, 0xffffffe8
	s_sub_i32 s8, s8, s0
	s_mul_i32 s9, s1, 0xffffffe8
	s_mul_i32 s2, s0, 0xffffffe8
	s_add_i32 s8, s8, s9
	s_mul_hi_u32 s4, s1, s2
	s_mul_i32 s5, s1, s2
	s_mul_i32 s10, s0, s8
	s_mul_hi_u32 s2, s0, s2
	s_mul_hi_u32 s9, s0, s8
	s_add_u32 s2, s2, s10
	s_addc_u32 s9, 0, s9
	s_add_u32 s2, s2, s5
	s_mul_hi_u32 s10, s1, s8
	s_addc_u32 s2, s9, s4
	s_addc_u32 s4, s10, 0
	s_mul_i32 s5, s1, s8
	s_add_u32 s2, s2, s5
	v_mov_b32_e32 v2, s2
	s_addc_u32 s4, 0, s4
	v_add_co_u32_e32 v4, vcc, s0, v2
	s_cmp_lg_u64 vcc, 0
	s_addc_u32 s2, s1, s4
	v_mad_u64_u32 v[2:3], s[0:1], v28, s2, 0
	v_mul_hi_u32 v5, v28, v4
	v_add_co_u32_e32 v29, vcc, v5, v2
	v_addc_co_u32_e32 v31, vcc, 0, v3, vcc
	v_mad_u64_u32 v[32:33], s[0:1], v30, v4, 0
	global_load_dwordx4 v[2:5], v[18:19], off offset:48
	global_load_dwordx4 v[10:13], v[18:19], off offset:32
	v_add_co_u32_e32 v29, vcc, v29, v32
	v_mad_u64_u32 v[34:35], s[0:1], v30, s2, 0
	v_addc_co_u32_e32 v29, vcc, v31, v33, vcc
	v_addc_co_u32_e32 v31, vcc, 0, v35, vcc
	v_add_co_u32_e32 v29, vcc, v29, v34
	v_mad_u64_u32 v[32:33], s[0:1], v29, 24, 0
	v_addc_co_u32_e32 v38, vcc, 0, v31, vcc
	v_mov_b32_e32 v34, v33
	v_mad_u64_u32 v[34:35], s[0:1], v38, 24, v[34:35]
	v_sub_co_u32_e32 v28, vcc, v28, v32
	v_subb_co_u32_e32 v39, vcc, v30, v34, vcc
	v_subrev_co_u32_e32 v30, vcc, 24, v28
	v_subbrev_co_u32_e32 v31, vcc, 0, v39, vcc
	v_cmp_lt_u32_e32 vcc, 23, v30
	v_cndmask_b32_e64 v30, 0, -1, vcc
	v_cmp_eq_u32_e32 vcc, 0, v31
	v_cndmask_b32_e32 v40, -1, v30, vcc
	global_load_dwordx4 v[30:33], v[18:19], off offset:80
	global_load_dwordx4 v[34:37], v[18:19], off offset:64
	v_add_co_u32_e32 v41, vcc, 2, v29
	v_addc_co_u32_e32 v42, vcc, 0, v38, vcc
	v_add_co_u32_e32 v43, vcc, 1, v29
	v_cmp_lt_u32_e64 s[0:1], 23, v28
	v_addc_co_u32_e32 v44, vcc, 0, v38, vcc
	v_cndmask_b32_e64 v28, 0, -1, s[0:1]
	v_cmp_eq_u32_e64 s[0:1], 0, v39
	v_cmp_ne_u32_e32 vcc, 0, v40
	v_cndmask_b32_e64 v28, -1, v28, s[0:1]
	v_cndmask_b32_e32 v40, v44, v42, vcc
	v_cmp_ne_u32_e64 s[0:1], 0, v28
	v_cndmask_b32_e32 v28, v43, v41, vcc
	s_waitcnt vmcnt(4)
	v_cmp_lt_f32_e32 vcc, v15, v14
	v_cndmask_b32_e64 v42, v38, v40, s[0:1]
	v_cndmask_b32_e32 v38, v14, v15, vcc
	v_cmp_gt_f32_e32 vcc, v15, v14
	v_cndmask_b32_e32 v14, v14, v15, vcc
	v_cmp_lt_f32_e32 vcc, v16, v38
	v_cndmask_b32_e32 v15, v38, v16, vcc
	v_cmp_gt_f32_e32 vcc, v16, v14
	v_cndmask_b32_e32 v14, v14, v16, vcc
	v_cmp_lt_f32_e32 vcc, v17, v15
	v_cndmask_b32_e32 v44, v15, v17, vcc
	v_cmp_gt_f32_e32 vcc, v17, v14
	v_cndmask_b32_e32 v45, v14, v17, vcc
	global_load_dwordx4 v[14:17], v[18:19], off offset:112
	global_load_dwordx4 v[38:41], v[18:19], off offset:96
	v_cmp_lt_f32_e32 vcc, v6, v44
	v_cndmask_b32_e32 v44, v44, v6, vcc
	v_cmp_gt_f32_e32 vcc, v6, v45
	v_cndmask_b32_e32 v6, v45, v6, vcc
	v_cmp_lt_f32_e32 vcc, v7, v44
	v_cndmask_b32_e32 v44, v44, v7, vcc
	v_cmp_gt_f32_e32 vcc, v7, v6
	v_cndmask_b32_e32 v6, v6, v7, vcc
	;; [unrolled: 4-line block ×4, first 2 shown]
	s_mov_b32 s2, 0x41f80000
	v_cndmask_b32_e64 v43, v29, v28, s[0:1]
	v_mad_u64_u32 v[28:29], s[0:1], v43, 24, s[6:7]
	s_waitcnt vmcnt(4)
	v_cmp_lt_f32_e32 vcc, v10, v7
	v_cndmask_b32_e32 v7, v7, v10, vcc
	v_cmp_gt_f32_e32 vcc, v10, v6
	v_cndmask_b32_e32 v6, v6, v10, vcc
	v_cmp_lt_f32_e32 vcc, v11, v7
	v_cndmask_b32_e32 v7, v7, v11, vcc
	v_cmp_gt_f32_e32 vcc, v11, v6
	v_cndmask_b32_e32 v6, v6, v11, vcc
	v_cmp_lt_f32_e32 vcc, v12, v7
	v_cndmask_b32_e32 v7, v7, v12, vcc
	v_cmp_gt_f32_e32 vcc, v12, v6
	v_cndmask_b32_e32 v6, v6, v12, vcc
	v_cmp_lt_f32_e32 vcc, v13, v7
	v_cndmask_b32_e32 v7, v7, v13, vcc
	v_cmp_gt_f32_e32 vcc, v13, v6
	v_cndmask_b32_e32 v6, v6, v13, vcc
	v_cmp_lt_f32_e32 vcc, v2, v7
	v_cndmask_b32_e32 v7, v7, v2, vcc
	v_cmp_gt_f32_e32 vcc, v2, v6
	v_cndmask_b32_e32 v2, v6, v2, vcc
	v_cmp_lt_f32_e32 vcc, v3, v7
	v_cndmask_b32_e32 v6, v7, v3, vcc
	v_cmp_gt_f32_e32 vcc, v3, v2
	v_cndmask_b32_e32 v2, v2, v3, vcc
	v_cmp_lt_f32_e32 vcc, v4, v6
	v_cndmask_b32_e32 v3, v6, v4, vcc
	v_cmp_gt_f32_e32 vcc, v4, v2
	v_cndmask_b32_e32 v2, v2, v4, vcc
	v_cmp_lt_f32_e32 vcc, v5, v3
	v_cndmask_b32_e32 v3, v3, v5, vcc
	v_cmp_gt_f32_e32 vcc, v5, v2
	v_cndmask_b32_e32 v2, v2, v5, vcc
	s_waitcnt vmcnt(2)
	v_cmp_lt_f32_e32 vcc, v34, v3
	v_cndmask_b32_e32 v3, v3, v34, vcc
	v_cmp_gt_f32_e32 vcc, v34, v2
	v_cndmask_b32_e32 v2, v2, v34, vcc
	v_cmp_lt_f32_e32 vcc, v35, v3
	v_cndmask_b32_e32 v3, v3, v35, vcc
	v_cmp_gt_f32_e32 vcc, v35, v2
	v_cndmask_b32_e32 v2, v2, v35, vcc
	v_cmp_lt_f32_e32 vcc, v36, v3
	v_cndmask_b32_e32 v3, v3, v36, vcc
	v_cmp_gt_f32_e32 vcc, v36, v2
	v_cndmask_b32_e32 v2, v2, v36, vcc
	v_cmp_lt_f32_e32 vcc, v37, v3
	v_cndmask_b32_e32 v3, v3, v37, vcc
	v_cmp_gt_f32_e32 vcc, v37, v2
	v_cndmask_b32_e32 v2, v2, v37, vcc
	v_cmp_lt_f32_e32 vcc, v30, v3
	v_cndmask_b32_e32 v3, v3, v30, vcc
	v_cmp_gt_f32_e32 vcc, v30, v2
	v_cndmask_b32_e32 v2, v2, v30, vcc
	v_cmp_lt_f32_e32 vcc, v31, v3
	v_cndmask_b32_e32 v3, v3, v31, vcc
	v_cmp_gt_f32_e32 vcc, v31, v2
	v_cndmask_b32_e32 v2, v2, v31, vcc
	v_cmp_lt_f32_e32 vcc, v32, v3
	v_cndmask_b32_e32 v3, v3, v32, vcc
	v_cmp_gt_f32_e32 vcc, v32, v2
	v_cndmask_b32_e32 v2, v2, v32, vcc
	v_cmp_lt_f32_e32 vcc, v33, v3
	v_cndmask_b32_e32 v3, v3, v33, vcc
	v_cmp_gt_f32_e32 vcc, v33, v2
	v_cndmask_b32_e32 v2, v2, v33, vcc
	;; [unrolled: 33-line block ×3, first 2 shown]
	v_sub_f32_e32 v2, v2, v6
	v_div_scale_f32 v3, s[0:1], s2, s2, v2
	v_rcp_f32_e32 v4, v3
	v_mul_lo_u32 v8, v42, 24
	v_add_u32_e32 v29, v8, v29
	s_mov_b32 s4, 0x4020c0c
	v_fma_f32 v5, -v3, v4, 1.0
	v_fmac_f32_e32 v4, v5, v4
	v_div_scale_f32 v5, vcc, v2, s2, v2
	v_mul_f32_e32 v7, v5, v4
	v_fma_f32 v9, -v3, v7, v5
	v_fmac_f32_e32 v7, v9, v4
	v_fma_f32 v3, -v3, v7, v5
	v_div_fmas_f32 v3, v3, v4, v7
	v_div_fixup_f32 v4, v3, s2, v2
	v_div_scale_f32 v5, s[0:1], v4, v4, 1.0
	v_rcp_f32_e32 v7, v5
	v_mad_u64_u32 v[2:3], s[0:1], v0, 24, v[28:29]
	v_mul_lo_u32 v0, v0, 24
	v_fma_f32 v9, -v5, v7, 1.0
	v_fmac_f32_e32 v7, v9, v7
	v_div_scale_f32 v9, vcc, 1.0, v4, 1.0
	v_mul_f32_e32 v10, v9, v7
	v_fma_f32 v11, -v5, v10, v9
	v_fmac_f32_e32 v10, v11, v7
	v_fma_f32 v5, -v5, v10, v9
	v_div_fmas_f32 v5, v5, v7, v10
	v_cvt_f16_f32_e32 v9, v4
	v_cvt_f16_f32_e32 v10, v6
	v_div_fixup_f32 v5, v5, v4, 1.0
	v_cmp_neq_f32_e32 vcc, 0, v4
	v_cndmask_b32_e32 v7, 0, v5, vcc
	v_pack_b32_f16 v4, v9, v10
	global_store_dword v[2:3], v4, off
	v_mad_u64_u32 v[4:5], s[0:1], v43, 24, v[0:1]
	v_add_u32_e32 v5, v8, v5
	v_mov_b32_e32 v8, s7
	v_add_co_u32_e32 v0, vcc, s6, v4
	v_addc_co_u32_e32 v8, vcc, v8, v5, vcc
	v_add_co_u32_e32 v4, vcc, v22, v24
	v_addc_co_u32_e32 v5, vcc, v23, v25, vcc
	;; [unrolled: 2-line block ×4, first 2 shown]
	v_mov_b32_e32 v9, s37
	v_add_co_u32_e32 v4, vcc, s36, v4
	v_addc_co_u32_e32 v5, vcc, v5, v9, vcc
	v_add_co_u32_e32 v4, vcc, 64, v4
	v_addc_co_u32_e32 v5, vcc, 0, v5, vcc
	s_mov_b64 s[0:1], 0
	v_mov_b32_e32 v9, 15
	v_mov_b32_e32 v11, 0
	;; [unrolled: 1-line block ×4, first 2 shown]
.LBB6_2:                                ; =>This Inner Loop Header: Depth=1
	s_or_b32 s2, s0, 17
	global_load_dwordx2 v[14:15], v[4:5], off offset:-64
	global_load_dword v20, v[4:5], off
	s_lshl_b64 s[6:7], s[2:3], 2
	v_mov_b32_e32 v13, s7
	v_add_co_u32_e32 v16, vcc, s6, v18
	v_addc_co_u32_e32 v17, vcc, v19, v13, vcc
	global_load_dword v16, v[16:17], off
	v_lshlrev_b32_e32 v17, 16, v12
	v_lshlrev_b32_e32 v11, 8, v11
	v_and_b32_e32 v1, 0xff, v1
	v_perm_b32 v10, v10, v17, s4
	v_and_b32_e32 v11, 0xff00, v11
	v_or3_b32 v1, v10, v11, v1
	s_add_i32 s5, s0, 16
	v_add_co_u32_e32 v4, vcc, 8, v4
	s_add_i32 s6, s0, 1
	v_addc_co_u32_e32 v5, vcc, 0, v5, vcc
	v_mov_b32_e32 v13, s1
	v_add_co_u32_e32 v12, vcc, s0, v0
	v_addc_co_u32_e32 v13, vcc, v8, v13, vcc
	s_waitcnt vmcnt(2)
	v_sub_f32_e32 v10, v14, v6
	s_waitcnt vmcnt(1)
	v_sub_f32_e32 v11, v20, v6
	v_sub_f32_e32 v14, v15, v6
	v_fma_f32 v10, v7, v10, 0.5
	v_fma_f32 v11, v7, v11, 0.5
	;; [unrolled: 1-line block ×3, first 2 shown]
	v_cvt_i32_f32_e32 v10, v10
	v_cvt_i32_f32_e32 v11, v11
	;; [unrolled: 1-line block ×3, first 2 shown]
	s_waitcnt vmcnt(0)
	v_sub_f32_e32 v15, v16, v6
	v_fma_f32 v15, v7, v15, 0.5
	v_cvt_i32_f32_e32 v15, v15
	v_and_b32_e32 v16, 15, v10
	v_lshlrev_b16_e32 v17, 4, v11
	v_lshrrev_b16_e32 v10, 4, v10
	v_lshrrev_b16_e32 v11, 4, v11
	v_and_b32_sdwa v20, v14, v9 dst_sel:BYTE_1 dst_unused:UNUSED_PAD src0_sel:DWORD src1_sel:DWORD
	v_lshrrev_b16_e32 v14, 4, v14
	v_and_b32_e32 v10, 1, v10
	v_and_b32_e32 v11, 1, v11
	;; [unrolled: 1-line block ×3, first 2 shown]
	v_lshlrev_b32_sdwa v10, s0, v10 dst_sel:DWORD dst_unused:UNUSED_PAD src0_sel:DWORD src1_sel:WORD_0
	v_lshlrev_b32_sdwa v11, s5, v11 dst_sel:DWORD dst_unused:UNUSED_PAD src0_sel:DWORD src1_sel:WORD_0
	v_and_b32_e32 v14, 0xffff, v14
	v_or3_b32 v1, v10, v1, v11
	v_lshlrev_b16_e32 v10, 12, v15
	v_lshrrev_b16_e32 v11, 4, v15
	v_or_b32_e32 v16, v17, v16
	v_lshl_or_b32 v1, v14, s6, v1
	v_or_b32_e32 v10, v10, v20
	v_and_b32_e32 v14, 1, v11
	s_add_u32 s0, s0, 2
	v_or_b32_sdwa v10, v16, v10 dst_sel:DWORD dst_unused:UNUSED_PAD src0_sel:BYTE_0 src1_sel:DWORD
	v_and_b32_e32 v14, 0xffff, v14
	s_addc_u32 s1, s1, 0
	global_store_short v[12:13], v10, off offset:8
	v_lshl_or_b32 v10, v14, s2, v1
	s_cmp_lg_u32 s0, 16
	v_lshrrev_b32_e32 v11, 8, v1
	v_lshrrev_b32_e32 v12, 16, v10
	;; [unrolled: 1-line block ×3, first 2 shown]
	s_cbranch_scc1 .LBB6_2
; %bb.3:
	v_lshlrev_b16_e32 v0, 8, v11
	v_or_b32_sdwa v0, v1, v0 dst_sel:DWORD dst_unused:UNUSED_PAD src0_sel:BYTE_0 src1_sel:DWORD
	v_lshlrev_b16_e32 v1, 8, v10
	v_or_b32_sdwa v1, v12, v1 dst_sel:WORD_1 dst_unused:UNUSED_PAD src0_sel:BYTE_0 src1_sel:DWORD
	v_or_b32_sdwa v0, v0, v1 dst_sel:DWORD dst_unused:UNUSED_PAD src0_sel:WORD_0 src1_sel:DWORD
	global_store_dword v[2:3], v0, off offset:4
.LBB6_4:
	s_endpgm
	.section	.rodata,"a",@progbits
	.p2align	6, 0x0
	.amdhsa_kernel _ZL16k_set_rows_quantIl10block_q5_1Li32ETnPFvPKfPT0_EXadL_ZL23quantize_f32_q5_1_blockS2_PS0_EEEvS2_PKT_S4_llllllllllllll15HIP_vector_typeIjLj3EESC_SC_SC_SC_
		.amdhsa_group_segment_fixed_size 0
		.amdhsa_private_segment_fixed_size 0
		.amdhsa_kernarg_size 456
		.amdhsa_user_sgpr_count 6
		.amdhsa_user_sgpr_private_segment_buffer 1
		.amdhsa_user_sgpr_dispatch_ptr 0
		.amdhsa_user_sgpr_queue_ptr 0
		.amdhsa_user_sgpr_kernarg_segment_ptr 1
		.amdhsa_user_sgpr_dispatch_id 0
		.amdhsa_user_sgpr_flat_scratch_init 0
		.amdhsa_user_sgpr_kernarg_preload_length 0
		.amdhsa_user_sgpr_kernarg_preload_offset 0
		.amdhsa_user_sgpr_private_segment_size 0
		.amdhsa_uses_dynamic_stack 0
		.amdhsa_system_sgpr_private_segment_wavefront_offset 0
		.amdhsa_system_sgpr_workgroup_id_x 1
		.amdhsa_system_sgpr_workgroup_id_y 0
		.amdhsa_system_sgpr_workgroup_id_z 0
		.amdhsa_system_sgpr_workgroup_info 0
		.amdhsa_system_vgpr_workitem_id 0
		.amdhsa_next_free_vgpr 46
		.amdhsa_next_free_sgpr 40
		.amdhsa_accum_offset 48
		.amdhsa_reserve_vcc 1
		.amdhsa_reserve_flat_scratch 0
		.amdhsa_float_round_mode_32 0
		.amdhsa_float_round_mode_16_64 0
		.amdhsa_float_denorm_mode_32 3
		.amdhsa_float_denorm_mode_16_64 3
		.amdhsa_dx10_clamp 1
		.amdhsa_ieee_mode 1
		.amdhsa_fp16_overflow 0
		.amdhsa_tg_split 0
		.amdhsa_exception_fp_ieee_invalid_op 0
		.amdhsa_exception_fp_denorm_src 0
		.amdhsa_exception_fp_ieee_div_zero 0
		.amdhsa_exception_fp_ieee_overflow 0
		.amdhsa_exception_fp_ieee_underflow 0
		.amdhsa_exception_fp_ieee_inexact 0
		.amdhsa_exception_int_div_zero 0
	.end_amdhsa_kernel
	.section	.text._ZL16k_set_rows_quantIl10block_q5_1Li32ETnPFvPKfPT0_EXadL_ZL23quantize_f32_q5_1_blockS2_PS0_EEEvS2_PKT_S4_llllllllllllll15HIP_vector_typeIjLj3EESC_SC_SC_SC_,"axG",@progbits,_ZL16k_set_rows_quantIl10block_q5_1Li32ETnPFvPKfPT0_EXadL_ZL23quantize_f32_q5_1_blockS2_PS0_EEEvS2_PKT_S4_llllllllllllll15HIP_vector_typeIjLj3EESC_SC_SC_SC_,comdat
.Lfunc_end6:
	.size	_ZL16k_set_rows_quantIl10block_q5_1Li32ETnPFvPKfPT0_EXadL_ZL23quantize_f32_q5_1_blockS2_PS0_EEEvS2_PKT_S4_llllllllllllll15HIP_vector_typeIjLj3EESC_SC_SC_SC_, .Lfunc_end6-_ZL16k_set_rows_quantIl10block_q5_1Li32ETnPFvPKfPT0_EXadL_ZL23quantize_f32_q5_1_blockS2_PS0_EEEvS2_PKT_S4_llllllllllllll15HIP_vector_typeIjLj3EESC_SC_SC_SC_
                                        ; -- End function
	.section	.AMDGPU.csdata,"",@progbits
; Kernel info:
; codeLenInByte = 2244
; NumSgprs: 44
; NumVgprs: 46
; NumAgprs: 0
; TotalNumVgprs: 46
; ScratchSize: 0
; MemoryBound: 0
; FloatMode: 240
; IeeeMode: 1
; LDSByteSize: 0 bytes/workgroup (compile time only)
; SGPRBlocks: 5
; VGPRBlocks: 5
; NumSGPRsForWavesPerEU: 44
; NumVGPRsForWavesPerEU: 46
; AccumOffset: 48
; Occupancy: 8
; WaveLimiterHint : 1
; COMPUTE_PGM_RSRC2:SCRATCH_EN: 0
; COMPUTE_PGM_RSRC2:USER_SGPR: 6
; COMPUTE_PGM_RSRC2:TRAP_HANDLER: 0
; COMPUTE_PGM_RSRC2:TGID_X_EN: 1
; COMPUTE_PGM_RSRC2:TGID_Y_EN: 0
; COMPUTE_PGM_RSRC2:TGID_Z_EN: 0
; COMPUTE_PGM_RSRC2:TIDIG_COMP_CNT: 0
; COMPUTE_PGM_RSRC3_GFX90A:ACCUM_OFFSET: 11
; COMPUTE_PGM_RSRC3_GFX90A:TG_SPLIT: 0
	.section	.text._ZL16k_set_rows_quantIl10block_q8_0Li32ETnPFvPKfPT0_EXadL_ZL23quantize_f32_q8_0_blockS2_PS0_EEEvS2_PKT_S4_llllllllllllll15HIP_vector_typeIjLj3EESC_SC_SC_SC_,"axG",@progbits,_ZL16k_set_rows_quantIl10block_q8_0Li32ETnPFvPKfPT0_EXadL_ZL23quantize_f32_q8_0_blockS2_PS0_EEEvS2_PKT_S4_llllllllllllll15HIP_vector_typeIjLj3EESC_SC_SC_SC_,comdat
	.globl	_ZL16k_set_rows_quantIl10block_q8_0Li32ETnPFvPKfPT0_EXadL_ZL23quantize_f32_q8_0_blockS2_PS0_EEEvS2_PKT_S4_llllllllllllll15HIP_vector_typeIjLj3EESC_SC_SC_SC_ ; -- Begin function _ZL16k_set_rows_quantIl10block_q8_0Li32ETnPFvPKfPT0_EXadL_ZL23quantize_f32_q8_0_blockS2_PS0_EEEvS2_PKT_S4_llllllllllllll15HIP_vector_typeIjLj3EESC_SC_SC_SC_
	.p2align	8
	.type	_ZL16k_set_rows_quantIl10block_q8_0Li32ETnPFvPKfPT0_EXadL_ZL23quantize_f32_q8_0_blockS2_PS0_EEEvS2_PKT_S4_llllllllllllll15HIP_vector_typeIjLj3EESC_SC_SC_SC_,@function
_ZL16k_set_rows_quantIl10block_q8_0Li32ETnPFvPKfPT0_EXadL_ZL23quantize_f32_q8_0_blockS2_PS0_EEEvS2_PKT_S4_llllllllllllll15HIP_vector_typeIjLj3EESC_SC_SC_SC_: ; @_ZL16k_set_rows_quantIl10block_q8_0Li32ETnPFvPKfPT0_EXadL_ZL23quantize_f32_q8_0_blockS2_PS0_EEEvS2_PKT_S4_llllllllllllll15HIP_vector_typeIjLj3EESC_SC_SC_SC_
; %bb.0:
	s_load_dword s2, s[4:5], 0xd4
	s_load_dwordx2 s[0:1], s[4:5], 0x18
	v_mov_b32_e32 v1, 0
	v_mov_b32_e32 v2, s6
	s_waitcnt lgkmcnt(0)
	s_and_b32 s2, s2, 0xffff
	v_mad_u64_u32 v[2:3], s[2:3], s2, v2, v[0:1]
	v_cmp_gt_i64_e32 vcc, s[0:1], v[2:3]
	s_and_saveexec_b64 s[0:1], vcc
	s_cbranch_execz .LBB7_2
; %bb.1:
	s_load_dwordx4 s[0:3], s[4:5], 0x0
	s_load_dwordx2 s[6:7], s[4:5], 0x10
	s_load_dwordx16 s[8:23], s[4:5], 0x40
	s_load_dwordx8 s[24:31], s[4:5], 0x88
	s_load_dword s33, s[4:5], 0xc0
	s_load_dwordx2 s[34:35], s[4:5], 0xb8
	s_load_dwordx4 s[36:39], s[4:5], 0xa8
	v_lshlrev_b32_e32 v6, 5, v2
	s_waitcnt lgkmcnt(0)
	v_mul_hi_u32 v0, s24, v6
	v_add_u32_e32 v0, v6, v0
	v_lshrrev_b32_e32 v7, s25, v0
	v_mul_hi_u32 v0, v7, s27
	v_add_u32_e32 v0, v7, v0
	v_lshrrev_b32_e32 v0, s28, v0
	v_mul_lo_u32 v2, v0, s29
	v_sub_u32_e32 v10, v7, v2
	v_mul_hi_u32 v2, v0, s30
	v_add_u32_e32 v2, v0, v2
	v_lshrrev_b32_e32 v13, s31, v2
	v_mul_lo_u32 v2, v13, s36
	v_sub_u32_e32 v14, v0, v2
	v_mul_hi_u32 v0, v13, s34
	v_add_u32_e32 v0, v13, v0
	v_lshrrev_b32_e32 v0, s35, v0
	v_mul_lo_u32 v0, v0, s33
	v_sub_u32_e32 v8, v13, v0
	v_mul_hi_u32 v0, v14, s37
	v_add_u32_e32 v0, v14, v0
	v_lshrrev_b32_e32 v0, s38, v0
	v_mul_lo_u32 v0, v0, s39
	v_mad_u64_u32 v[2:3], s[24:25], v10, s14, 0
	v_sub_u32_e32 v9, v14, v0
	v_mov_b32_e32 v0, v3
	v_mad_u64_u32 v[4:5], s[14:15], v10, s15, v[0:1]
	v_mov_b32_e32 v3, v4
	v_lshlrev_b64 v[2:3], 3, v[2:3]
	v_mov_b32_e32 v0, s3
	v_add_co_u32_e32 v11, vcc, s2, v2
	v_addc_co_u32_e32 v12, vcc, v0, v3, vcc
	v_mad_u64_u32 v[2:3], s[2:3], v9, s16, 0
	v_mov_b32_e32 v0, v3
	v_mad_u64_u32 v[4:5], s[2:3], v9, s17, v[0:1]
	v_mov_b32_e32 v3, v4
	v_lshlrev_b64 v[2:3], 3, v[2:3]
	v_add_co_u32_e32 v9, vcc, v11, v2
	v_addc_co_u32_e32 v11, vcc, v12, v3, vcc
	v_mad_u64_u32 v[2:3], s[2:3], v8, s18, 0
	v_mov_b32_e32 v0, v3
	v_mad_u64_u32 v[4:5], s[2:3], v8, s19, v[0:1]
	v_mov_b32_e32 v3, v4
	v_lshlrev_b64 v[2:3], 3, v[2:3]
	v_add_co_u32_e32 v2, vcc, v9, v2
	v_addc_co_u32_e32 v3, vcc, v11, v3, vcc
	global_load_dwordx2 v[2:3], v[2:3], off
	s_load_dwordx2 s[2:3], s[4:5], 0x80
	v_mul_lo_u32 v0, v7, s26
	v_mad_u64_u32 v[4:5], s[4:5], v10, s8, 0
	v_sub_u32_e32 v0, v6, v0
	v_mov_b32_e32 v6, v5
	v_mad_u64_u32 v[8:9], s[4:5], v13, s12, 0
	v_mad_u64_u32 v[6:7], s[4:5], v10, s9, v[6:7]
	v_mov_b32_e32 v10, v9
	v_mov_b32_e32 v5, v6
	v_mad_u64_u32 v[6:7], s[4:5], v14, s10, 0
	v_mad_u64_u32 v[10:11], s[4:5], v13, s13, v[10:11]
	v_lshlrev_b64 v[4:5], 2, v[4:5]
	v_mov_b32_e32 v15, s1
	v_mov_b32_e32 v12, v7
	;; [unrolled: 1-line block ×3, first 2 shown]
	v_add_co_u32_e32 v10, vcc, s0, v4
	v_addc_co_u32_e32 v11, vcc, v15, v5, vcc
	v_mad_u64_u32 v[4:5], s[0:1], v14, s11, v[12:13]
	v_mov_b32_e32 v7, v4
	v_lshlrev_b64 v[4:5], 2, v[6:7]
	v_add_co_u32_e32 v4, vcc, v10, v4
	v_lshlrev_b64 v[8:9], 2, v[8:9]
	v_addc_co_u32_e32 v5, vcc, v11, v5, vcc
	v_add_co_u32_e32 v6, vcc, v4, v8
	v_addc_co_u32_e32 v7, vcc, v5, v9, vcc
	s_waitcnt vmcnt(0)
	v_mul_lo_u32 v4, v3, s20
	v_mul_lo_u32 v5, v2, s21
	v_mad_u64_u32 v[2:3], s[0:1], v2, s20, 0
	v_add3_u32 v3, v3, v5, v4
	s_waitcnt lgkmcnt(0)
	v_mad_u64_u32 v[2:3], s[0:1], v13, s2, v[2:3]
	v_mov_b32_e32 v4, v3
	v_mad_u64_u32 v[4:5], s[0:1], v13, s3, v[4:5]
	v_mov_b32_e32 v3, v4
	;; [unrolled: 2-line block ×3, first 2 shown]
	v_mad_u64_u32 v[36:37], s[0:1], v14, s23, v[2:3]
	v_lshlrev_b64 v[2:3], 2, v[0:1]
	v_add_co_u32_e32 v38, vcc, v6, v2
	v_addc_co_u32_e32 v39, vcc, v7, v3, vcc
	global_load_dwordx4 v[30:33], v[38:39], off offset:16
	global_load_dwordx4 v[26:29], v[38:39], off
	global_load_dwordx4 v[22:25], v[38:39], off offset:48
	global_load_dwordx4 v[18:21], v[38:39], off offset:32
	global_load_dwordx4 v[14:17], v[38:39], off offset:80
	global_load_dwordx4 v[10:13], v[38:39], off offset:64
	global_load_dwordx4 v[6:9], v[38:39], off offset:112
	global_load_dwordx4 v[2:5], v[38:39], off offset:96
	s_add_u32 s0, 0, 0x87870380
	s_addc_u32 s1, 0, 31
	s_add_i32 s1, s1, 0x7878768
	s_mul_hi_u32 s5, s0, 0xffffffde
	s_sub_i32 s5, s5, s0
	s_mul_i32 s8, s1, 0xffffffde
	s_mul_i32 s2, s0, 0xffffffde
	s_add_i32 s5, s5, s8
	s_mul_hi_u32 s3, s1, s2
	s_mul_i32 s4, s1, s2
	s_mul_i32 s9, s0, s5
	s_mul_hi_u32 s2, s0, s2
	s_mul_hi_u32 s8, s0, s5
	s_add_u32 s2, s2, s9
	s_addc_u32 s8, 0, s8
	s_add_u32 s2, s2, s4
	s_mul_hi_u32 s9, s1, s5
	s_addc_u32 s2, s8, s3
	s_addc_u32 s3, s9, 0
	s_mul_i32 s4, s1, s5
	s_add_u32 s2, s2, s4
	v_mov_b32_e32 v1, s2
	s_addc_u32 s3, 0, s3
	v_add_co_u32_e32 v1, vcc, s0, v1
	s_cmp_lg_u64 vcc, 0
	s_addc_u32 s2, s1, s3
	v_mad_u64_u32 v[38:39], s[0:1], v34, s2, 0
	v_mul_hi_u32 v35, v34, v1
	v_add_co_u32_e32 v35, vcc, v35, v38
	v_addc_co_u32_e32 v37, vcc, 0, v39, vcc
	v_mad_u64_u32 v[38:39], s[0:1], v36, v1, 0
	v_add_co_u32_e32 v1, vcc, v35, v38
	v_mad_u64_u32 v[40:41], s[0:1], v36, s2, 0
	v_addc_co_u32_e32 v1, vcc, v37, v39, vcc
	v_addc_co_u32_e32 v35, vcc, 0, v41, vcc
	v_add_co_u32_e32 v1, vcc, v1, v40
	v_mad_u64_u32 v[38:39], s[0:1], v1, 34, 0
	v_addc_co_u32_e32 v35, vcc, 0, v35, vcc
	v_mov_b32_e32 v40, v39
	v_mad_u64_u32 v[40:41], s[0:1], v35, 34, v[40:41]
	v_sub_co_u32_e32 v34, vcc, v34, v38
	v_subb_co_u32_e32 v36, vcc, v36, v40, vcc
	v_subrev_co_u32_e32 v37, vcc, 34, v34
	v_subbrev_co_u32_e32 v38, vcc, 0, v36, vcc
	v_cmp_lt_u32_e32 vcc, 33, v37
	v_cndmask_b32_e64 v37, 0, -1, vcc
	v_cmp_eq_u32_e32 vcc, 0, v38
	v_cndmask_b32_e32 v37, -1, v37, vcc
	v_add_co_u32_e32 v38, vcc, 2, v1
	v_addc_co_u32_e32 v39, vcc, 0, v35, vcc
	v_add_co_u32_e32 v40, vcc, 1, v1
	v_cmp_lt_u32_e64 s[0:1], 33, v34
	v_addc_co_u32_e32 v41, vcc, 0, v35, vcc
	v_cndmask_b32_e64 v34, 0, -1, s[0:1]
	v_cmp_eq_u32_e64 s[0:1], 0, v36
	v_cmp_ne_u32_e32 vcc, 0, v37
	v_cndmask_b32_e64 v34, -1, v34, s[0:1]
	v_cmp_ne_u32_e64 s[0:1], 0, v34
	v_cndmask_b32_e32 v34, v40, v38, vcc
	v_cndmask_b32_e32 v37, v41, v39, vcc
	v_cndmask_b32_e64 v1, v1, v34, s[0:1]
	v_cndmask_b32_e64 v37, v35, v37, s[0:1]
	v_mad_u64_u32 v[34:35], s[0:1], v1, 34, s[6:7]
	s_waitcnt vmcnt(6)
	v_max3_f32 v1, |v26|, 0, |v27|
	v_max3_f32 v1, v1, |v28|, |v29|
	v_max3_f32 v1, v1, |v30|, |v31|
	v_max3_f32 v1, v1, |v32|, |v33|
	s_waitcnt vmcnt(4)
	v_max3_f32 v1, v1, |v18|, |v19|
	v_max3_f32 v1, v1, |v20|, |v21|
	v_max3_f32 v1, v1, |v22|, |v23|
	v_max3_f32 v1, v1, |v24|, |v25|
	s_waitcnt vmcnt(2)
	v_max3_f32 v1, v1, |v10|, |v11|
	;; [unrolled: 5-line block ×3, first 2 shown]
	v_max3_f32 v1, v1, |v4|, |v5|
	v_max3_f32 v1, v1, |v6|, |v7|
	;; [unrolled: 1-line block ×3, first 2 shown]
	s_mov_b32 s2, 0x42fe0000
	v_div_scale_f32 v38, s[0:1], s2, s2, v1
	v_rcp_f32_e32 v39, v38
	v_mov_b32_e32 v36, v35
	v_mad_u64_u32 v[36:37], s[0:1], v37, 34, v[36:37]
	v_mov_b32_e32 v35, v36
	v_fma_f32 v36, -v38, v39, 1.0
	v_fmac_f32_e32 v39, v36, v39
	v_div_scale_f32 v36, vcc, v1, s2, v1
	v_mul_f32_e32 v37, v36, v39
	v_fma_f32 v40, -v38, v37, v36
	v_fmac_f32_e32 v37, v40, v39
	v_fma_f32 v36, -v38, v37, v36
	v_div_fmas_f32 v36, v36, v39, v37
	v_div_fixup_f32 v36, v36, s2, v1
	v_div_scale_f32 v37, s[0:1], v36, v36, 1.0
	v_rcp_f32_e32 v38, v37
	v_lshrrev_b32_e32 v0, 5, v0
	v_mad_u64_u32 v[0:1], s[0:1], v0, 34, v[34:35]
	v_fma_f32 v34, -v37, v38, 1.0
	v_fmac_f32_e32 v38, v34, v38
	v_div_scale_f32 v34, vcc, 1.0, v36, 1.0
	v_mul_f32_e32 v35, v34, v38
	v_fma_f32 v39, -v37, v35, v34
	v_fmac_f32_e32 v35, v39, v38
	v_fma_f32 v34, -v37, v35, v34
	v_div_fmas_f32 v34, v34, v38, v35
	v_cvt_f16_f32_e32 v35, v36
	v_div_fixup_f32 v34, v34, v36, 1.0
	v_cmp_neq_f32_e32 vcc, 0, v36
	v_cndmask_b32_e32 v34, 0, v34, vcc
	v_pk_mul_f32 v[28:29], v[28:29], v[34:35] op_sel_hi:[1,0]
	global_store_short v[0:1], v35, off
	v_pk_mul_f32 v[30:31], v[30:31], v[34:35] op_sel_hi:[1,0]
	v_pk_mul_f32 v[32:33], v[32:33], v[34:35] op_sel_hi:[1,0]
	;; [unrolled: 1-line block ×3, first 2 shown]
	v_trunc_f32_e32 v35, v28
	v_sub_f32_e32 v36, v28, v35
	v_cmp_ge_f32_e64 s[0:1], |v36|, 0.5
	v_cndmask_b32_e64 v36, 0, 1.0, s[0:1]
	s_brev_b32 s0, -2
	v_bfi_b32 v28, s0, v36, v28
	v_add_f32_e32 v28, v35, v28
	v_trunc_f32_e32 v35, v29
	v_sub_f32_e32 v36, v29, v35
	v_cmp_ge_f32_e64 s[2:3], |v36|, 0.5
	v_cndmask_b32_e64 v36, 0, 1.0, s[2:3]
	v_bfi_b32 v29, s0, v36, v29
	v_add_f32_e32 v29, v35, v29
	v_trunc_f32_e32 v35, v26
	v_sub_f32_e32 v36, v26, v35
	v_cmp_ge_f32_e64 s[2:3], |v36|, 0.5
	v_cndmask_b32_e64 v36, 0, 1.0, s[2:3]
	;; [unrolled: 6-line block ×3, first 2 shown]
	v_bfi_b32 v27, s0, v36, v27
	v_add_f32_e32 v27, v35, v27
	v_trunc_f32_e32 v35, v32
	v_sub_f32_e32 v36, v32, v35
	v_trunc_f32_e32 v37, v30
	v_cmp_ge_f32_e64 s[2:3], |v36|, 0.5
	v_sub_f32_e32 v38, v30, v37
	v_cndmask_b32_e64 v36, 0, 1.0, s[2:3]
	v_cmp_ge_f32_e64 s[2:3], |v38|, 0.5
	v_cndmask_b32_e64 v38, 0, 1.0, s[2:3]
	v_bfi_b32 v30, s0, v38, v30
	v_add_f32_e32 v30, v37, v30
	v_trunc_f32_e32 v37, v31
	v_sub_f32_e32 v38, v31, v37
	v_cmp_ge_f32_e64 s[2:3], |v38|, 0.5
	v_bfi_b32 v32, s0, v36, v32
	v_cndmask_b32_e64 v38, 0, 1.0, s[2:3]
	v_add_f32_e32 v32, v35, v32
	v_trunc_f32_e32 v35, v33
	v_bfi_b32 v31, s0, v38, v31
	v_sub_f32_e32 v36, v33, v35
	v_add_f32_e32 v31, v37, v31
	v_cvt_i32_f32_sdwa v31, v31 dst_sel:BYTE_1 dst_unused:UNUSED_PAD src0_sel:DWORD
	v_cvt_i32_f32_e32 v30, v30
	v_cmp_ge_f32_e64 s[2:3], |v36|, 0.5
	v_cndmask_b32_e64 v36, 0, 1.0, s[2:3]
	v_bfi_b32 v33, s0, v36, v33
	v_add_f32_e32 v33, v35, v33
	v_or_b32_sdwa v30, v30, v31 dst_sel:DWORD dst_unused:UNUSED_PAD src0_sel:BYTE_0 src1_sel:DWORD
	v_cvt_i32_f32_sdwa v31, v33 dst_sel:BYTE_1 dst_unused:UNUSED_PAD src0_sel:DWORD
	v_cvt_i32_f32_sdwa v33, v27 dst_sel:BYTE_1 dst_unused:UNUSED_PAD src0_sel:DWORD
	v_cvt_i32_f32_e32 v26, v26
	v_cvt_i32_f32_sdwa v29, v29 dst_sel:BYTE_1 dst_unused:UNUSED_PAD src0_sel:DWORD
	v_cvt_i32_f32_e32 v28, v28
	v_pk_mul_f32 v[20:21], v[20:21], v[34:35] op_sel_hi:[1,0]
	v_or_b32_sdwa v26, v26, v33 dst_sel:DWORD dst_unused:UNUSED_PAD src0_sel:BYTE_0 src1_sel:DWORD
	v_pk_mul_f32 v[18:19], v[18:19], v[34:35] op_sel_hi:[1,0]
	v_or_b32_sdwa v28, v28, v29 dst_sel:WORD_1 dst_unused:UNUSED_PAD src0_sel:BYTE_0 src1_sel:DWORD
	v_or_b32_sdwa v26, v26, v28 dst_sel:DWORD dst_unused:UNUSED_PAD src0_sel:WORD_0 src1_sel:DWORD
	v_trunc_f32_e32 v28, v20
	v_sub_f32_e32 v29, v20, v28
	v_cmp_ge_f32_e64 s[2:3], |v29|, 0.5
	v_cndmask_b32_e64 v29, 0, 1.0, s[2:3]
	v_bfi_b32 v20, s0, v29, v20
	v_add_f32_e32 v20, v28, v20
	v_trunc_f32_e32 v28, v21
	v_sub_f32_e32 v29, v21, v28
	v_cmp_ge_f32_e64 s[2:3], |v29|, 0.5
	v_cndmask_b32_e64 v29, 0, 1.0, s[2:3]
	v_bfi_b32 v21, s0, v29, v21
	v_add_f32_e32 v21, v28, v21
	;; [unrolled: 6-line block ×3, first 2 shown]
	v_trunc_f32_e32 v28, v19
	v_cvt_i32_f32_e32 v32, v32
	v_sub_f32_e32 v29, v19, v28
	v_cmp_ge_f32_e64 s[2:3], |v29|, 0.5
	v_cndmask_b32_e64 v29, 0, 1.0, s[2:3]
	v_pk_mul_f32 v[24:25], v[24:25], v[34:35] op_sel_hi:[1,0]
	v_bfi_b32 v19, s0, v29, v19
	v_or_b32_sdwa v27, v32, v31 dst_sel:WORD_1 dst_unused:UNUSED_PAD src0_sel:BYTE_0 src1_sel:DWORD
	v_pk_mul_f32 v[22:23], v[22:23], v[34:35] op_sel_hi:[1,0]
	v_add_f32_e32 v19, v28, v19
	v_trunc_f32_e32 v28, v24
	v_or_b32_sdwa v27, v30, v27 dst_sel:DWORD dst_unused:UNUSED_PAD src0_sel:WORD_0 src1_sel:DWORD
	v_sub_f32_e32 v29, v24, v28
	v_trunc_f32_e32 v30, v22
	v_cmp_ge_f32_e64 s[2:3], |v29|, 0.5
	v_sub_f32_e32 v31, v22, v30
	v_cndmask_b32_e64 v29, 0, 1.0, s[2:3]
	v_cmp_ge_f32_e64 s[2:3], |v31|, 0.5
	v_cndmask_b32_e64 v31, 0, 1.0, s[2:3]
	v_bfi_b32 v22, s0, v31, v22
	v_bfi_b32 v24, s0, v29, v24
	v_add_f32_e32 v22, v30, v22
	v_trunc_f32_e32 v30, v23
	v_add_f32_e32 v24, v28, v24
	v_trunc_f32_e32 v28, v25
	v_sub_f32_e32 v31, v23, v30
	v_cvt_i32_f32_sdwa v19, v19 dst_sel:BYTE_1 dst_unused:UNUSED_PAD src0_sel:DWORD
	v_cvt_i32_f32_e32 v18, v18
	v_cvt_i32_f32_sdwa v21, v21 dst_sel:BYTE_1 dst_unused:UNUSED_PAD src0_sel:DWORD
	v_cvt_i32_f32_e32 v20, v20
	v_sub_f32_e32 v29, v25, v28
	v_cmp_ge_f32_e64 s[2:3], |v31|, 0.5
	v_cndmask_b32_e64 v31, 0, 1.0, s[2:3]
	v_cmp_ge_f32_e64 s[2:3], |v29|, 0.5
	v_cndmask_b32_e64 v29, 0, 1.0, s[2:3]
	v_bfi_b32 v25, s0, v29, v25
	v_or_b32_sdwa v18, v18, v19 dst_sel:DWORD dst_unused:UNUSED_PAD src0_sel:BYTE_0 src1_sel:DWORD
	v_or_b32_sdwa v19, v20, v21 dst_sel:WORD_1 dst_unused:UNUSED_PAD src0_sel:BYTE_0 src1_sel:DWORD
	v_pk_mul_f32 v[12:13], v[12:13], v[34:35] op_sel_hi:[1,0]
	v_add_f32_e32 v25, v28, v25
	v_or_b32_sdwa v28, v18, v19 dst_sel:DWORD dst_unused:UNUSED_PAD src0_sel:WORD_0 src1_sel:DWORD
	v_trunc_f32_e32 v18, v12
	v_sub_f32_e32 v19, v12, v18
	v_cmp_ge_f32_e64 s[2:3], |v19|, 0.5
	v_cndmask_b32_e64 v19, 0, 1.0, s[2:3]
	v_bfi_b32 v12, s0, v19, v12
	v_add_f32_e32 v12, v18, v12
	v_trunc_f32_e32 v18, v13
	v_sub_f32_e32 v19, v13, v18
	v_cmp_ge_f32_e64 s[2:3], |v19|, 0.5
	v_cndmask_b32_e64 v19, 0, 1.0, s[2:3]
	v_pk_mul_f32 v[10:11], v[10:11], v[34:35] op_sel_hi:[1,0]
	v_bfi_b32 v13, s0, v19, v13
	v_add_f32_e32 v13, v18, v13
	v_trunc_f32_e32 v18, v10
	v_sub_f32_e32 v19, v10, v18
	v_cmp_ge_f32_e64 s[2:3], |v19|, 0.5
	v_cndmask_b32_e64 v19, 0, 1.0, s[2:3]
	v_bfi_b32 v10, s0, v19, v10
	v_add_f32_e32 v10, v18, v10
	v_trunc_f32_e32 v18, v11
	v_sub_f32_e32 v19, v11, v18
	v_cmp_ge_f32_e64 s[2:3], |v19|, 0.5
	v_cndmask_b32_e64 v19, 0, 1.0, s[2:3]
	v_pk_mul_f32 v[16:17], v[16:17], v[34:35] op_sel_hi:[1,0]
	v_bfi_b32 v11, s0, v19, v11
	v_pk_mul_f32 v[14:15], v[14:15], v[34:35] op_sel_hi:[1,0]
	v_add_f32_e32 v11, v18, v11
	v_trunc_f32_e32 v18, v16
	v_sub_f32_e32 v19, v16, v18
	v_trunc_f32_e32 v20, v14
	v_cmp_ge_f32_e64 s[2:3], |v19|, 0.5
	v_sub_f32_e32 v21, v14, v20
	v_cndmask_b32_e64 v19, 0, 1.0, s[2:3]
	v_cmp_ge_f32_e64 s[2:3], |v21|, 0.5
	v_cndmask_b32_e64 v21, 0, 1.0, s[2:3]
	v_bfi_b32 v14, s0, v21, v14
	v_add_f32_e32 v14, v20, v14
	v_trunc_f32_e32 v20, v15
	v_sub_f32_e32 v21, v15, v20
	v_cmp_ge_f32_e64 s[2:3], |v21|, 0.5
	v_bfi_b32 v16, s0, v19, v16
	v_cndmask_b32_e64 v21, 0, 1.0, s[2:3]
	v_add_f32_e32 v16, v18, v16
	v_trunc_f32_e32 v18, v17
	v_bfi_b32 v15, s0, v21, v15
	v_sub_f32_e32 v19, v17, v18
	v_add_f32_e32 v15, v20, v15
	v_cvt_i32_f32_sdwa v15, v15 dst_sel:BYTE_1 dst_unused:UNUSED_PAD src0_sel:DWORD
	v_cvt_i32_f32_e32 v14, v14
	v_cmp_ge_f32_e64 s[2:3], |v19|, 0.5
	v_cndmask_b32_e64 v19, 0, 1.0, s[2:3]
	v_bfi_b32 v17, s0, v19, v17
	v_add_f32_e32 v17, v18, v17
	v_or_b32_sdwa v14, v14, v15 dst_sel:DWORD dst_unused:UNUSED_PAD src0_sel:BYTE_0 src1_sel:DWORD
	v_cvt_i32_f32_sdwa v15, v17 dst_sel:BYTE_1 dst_unused:UNUSED_PAD src0_sel:DWORD
	v_cvt_i32_f32_sdwa v17, v11 dst_sel:BYTE_1 dst_unused:UNUSED_PAD src0_sel:DWORD
	v_cvt_i32_f32_e32 v10, v10
	v_cvt_i32_f32_sdwa v13, v13 dst_sel:BYTE_1 dst_unused:UNUSED_PAD src0_sel:DWORD
	v_cvt_i32_f32_e32 v12, v12
	v_pk_mul_f32 v[4:5], v[4:5], v[34:35] op_sel_hi:[1,0]
	v_or_b32_sdwa v10, v10, v17 dst_sel:DWORD dst_unused:UNUSED_PAD src0_sel:BYTE_0 src1_sel:DWORD
	v_pk_mul_f32 v[2:3], v[2:3], v[34:35] op_sel_hi:[1,0]
	v_or_b32_sdwa v12, v12, v13 dst_sel:WORD_1 dst_unused:UNUSED_PAD src0_sel:BYTE_0 src1_sel:DWORD
	v_or_b32_sdwa v10, v10, v12 dst_sel:DWORD dst_unused:UNUSED_PAD src0_sel:WORD_0 src1_sel:DWORD
	v_trunc_f32_e32 v12, v4
	v_sub_f32_e32 v13, v4, v12
	v_cmp_ge_f32_e64 s[2:3], |v13|, 0.5
	v_cndmask_b32_e64 v13, 0, 1.0, s[2:3]
	v_bfi_b32 v4, s0, v13, v4
	v_add_f32_e32 v4, v12, v4
	v_trunc_f32_e32 v12, v5
	v_sub_f32_e32 v13, v5, v12
	v_cmp_ge_f32_e64 s[2:3], |v13|, 0.5
	v_cndmask_b32_e64 v13, 0, 1.0, s[2:3]
	v_bfi_b32 v5, s0, v13, v5
	v_add_f32_e32 v5, v12, v5
	;; [unrolled: 6-line block ×3, first 2 shown]
	v_trunc_f32_e32 v12, v3
	v_cvt_i32_f32_e32 v16, v16
	v_sub_f32_e32 v13, v3, v12
	v_cmp_ge_f32_e64 s[2:3], |v13|, 0.5
	v_cndmask_b32_e64 v13, 0, 1.0, s[2:3]
	v_pk_mul_f32 v[8:9], v[8:9], v[34:35] op_sel_hi:[1,0]
	v_bfi_b32 v3, s0, v13, v3
	v_or_b32_sdwa v11, v16, v15 dst_sel:WORD_1 dst_unused:UNUSED_PAD src0_sel:BYTE_0 src1_sel:DWORD
	v_pk_mul_f32 v[6:7], v[6:7], v[34:35] op_sel_hi:[1,0]
	v_add_f32_e32 v3, v12, v3
	v_trunc_f32_e32 v12, v8
	v_or_b32_sdwa v11, v14, v11 dst_sel:DWORD dst_unused:UNUSED_PAD src0_sel:WORD_0 src1_sel:DWORD
	v_sub_f32_e32 v13, v8, v12
	v_trunc_f32_e32 v14, v6
	v_cmp_ge_f32_e64 s[2:3], |v13|, 0.5
	v_sub_f32_e32 v15, v6, v14
	v_cndmask_b32_e64 v13, 0, 1.0, s[2:3]
	v_cmp_ge_f32_e64 s[2:3], |v15|, 0.5
	v_cndmask_b32_e64 v15, 0, 1.0, s[2:3]
	v_bfi_b32 v6, s0, v15, v6
	v_add_f32_e32 v6, v14, v6
	v_trunc_f32_e32 v14, v7
	v_sub_f32_e32 v15, v7, v14
	v_cmp_ge_f32_e64 s[2:3], |v15|, 0.5
	v_bfi_b32 v8, s0, v13, v8
	v_cndmask_b32_e64 v15, 0, 1.0, s[2:3]
	v_bfi_b32 v23, s0, v31, v23
	v_add_f32_e32 v8, v12, v8
	v_trunc_f32_e32 v12, v9
	v_bfi_b32 v7, s0, v15, v7
	v_add_f32_e32 v23, v30, v23
	v_sub_f32_e32 v13, v9, v12
	v_add_f32_e32 v7, v14, v7
	v_cvt_i32_f32_sdwa v23, v23 dst_sel:BYTE_1 dst_unused:UNUSED_PAD src0_sel:DWORD
	v_cvt_i32_f32_e32 v22, v22
	v_cvt_i32_f32_sdwa v7, v7 dst_sel:BYTE_1 dst_unused:UNUSED_PAD src0_sel:DWORD
	v_cvt_i32_f32_e32 v6, v6
	v_cmp_ge_f32_e64 s[2:3], |v13|, 0.5
	v_cndmask_b32_e64 v13, 0, 1.0, s[2:3]
	v_bfi_b32 v9, s0, v13, v9
	v_add_f32_e32 v9, v12, v9
	v_or_b32_sdwa v22, v22, v23 dst_sel:DWORD dst_unused:UNUSED_PAD src0_sel:BYTE_0 src1_sel:DWORD
	v_cvt_i32_f32_sdwa v23, v25 dst_sel:BYTE_1 dst_unused:UNUSED_PAD src0_sel:DWORD
	v_cvt_i32_f32_e32 v24, v24
	v_or_b32_sdwa v6, v6, v7 dst_sel:DWORD dst_unused:UNUSED_PAD src0_sel:BYTE_0 src1_sel:DWORD
	v_cvt_i32_f32_sdwa v7, v9 dst_sel:BYTE_1 dst_unused:UNUSED_PAD src0_sel:DWORD
	v_cvt_i32_f32_e32 v8, v8
	v_cvt_i32_f32_sdwa v3, v3 dst_sel:BYTE_1 dst_unused:UNUSED_PAD src0_sel:DWORD
	v_cvt_i32_f32_e32 v2, v2
	;; [unrolled: 2-line block ×3, first 2 shown]
	v_or_b32_sdwa v23, v24, v23 dst_sel:WORD_1 dst_unused:UNUSED_PAD src0_sel:BYTE_0 src1_sel:DWORD
	v_or_b32_sdwa v7, v8, v7 dst_sel:WORD_1 dst_unused:UNUSED_PAD src0_sel:BYTE_0 src1_sel:DWORD
	v_or_b32_sdwa v2, v2, v3 dst_sel:DWORD dst_unused:UNUSED_PAD src0_sel:BYTE_0 src1_sel:DWORD
	v_or_b32_sdwa v3, v4, v5 dst_sel:WORD_1 dst_unused:UNUSED_PAD src0_sel:BYTE_0 src1_sel:DWORD
	v_or_b32_sdwa v29, v22, v23 dst_sel:DWORD dst_unused:UNUSED_PAD src0_sel:WORD_0 src1_sel:DWORD
	v_or_b32_sdwa v13, v6, v7 dst_sel:DWORD dst_unused:UNUSED_PAD src0_sel:WORD_0 src1_sel:DWORD
	;; [unrolled: 1-line block ×3, first 2 shown]
	global_store_dwordx4 v[0:1], v[26:29], off offset:2
	global_store_dwordx4 v[0:1], v[10:13], off offset:18
.LBB7_2:
	s_endpgm
	.section	.rodata,"a",@progbits
	.p2align	6, 0x0
	.amdhsa_kernel _ZL16k_set_rows_quantIl10block_q8_0Li32ETnPFvPKfPT0_EXadL_ZL23quantize_f32_q8_0_blockS2_PS0_EEEvS2_PKT_S4_llllllllllllll15HIP_vector_typeIjLj3EESC_SC_SC_SC_
		.amdhsa_group_segment_fixed_size 0
		.amdhsa_private_segment_fixed_size 0
		.amdhsa_kernarg_size 456
		.amdhsa_user_sgpr_count 6
		.amdhsa_user_sgpr_private_segment_buffer 1
		.amdhsa_user_sgpr_dispatch_ptr 0
		.amdhsa_user_sgpr_queue_ptr 0
		.amdhsa_user_sgpr_kernarg_segment_ptr 1
		.amdhsa_user_sgpr_dispatch_id 0
		.amdhsa_user_sgpr_flat_scratch_init 0
		.amdhsa_user_sgpr_kernarg_preload_length 0
		.amdhsa_user_sgpr_kernarg_preload_offset 0
		.amdhsa_user_sgpr_private_segment_size 0
		.amdhsa_uses_dynamic_stack 0
		.amdhsa_system_sgpr_private_segment_wavefront_offset 0
		.amdhsa_system_sgpr_workgroup_id_x 1
		.amdhsa_system_sgpr_workgroup_id_y 0
		.amdhsa_system_sgpr_workgroup_id_z 0
		.amdhsa_system_sgpr_workgroup_info 0
		.amdhsa_system_vgpr_workitem_id 0
		.amdhsa_next_free_vgpr 42
		.amdhsa_next_free_sgpr 40
		.amdhsa_accum_offset 44
		.amdhsa_reserve_vcc 1
		.amdhsa_reserve_flat_scratch 0
		.amdhsa_float_round_mode_32 0
		.amdhsa_float_round_mode_16_64 0
		.amdhsa_float_denorm_mode_32 3
		.amdhsa_float_denorm_mode_16_64 3
		.amdhsa_dx10_clamp 1
		.amdhsa_ieee_mode 1
		.amdhsa_fp16_overflow 0
		.amdhsa_tg_split 0
		.amdhsa_exception_fp_ieee_invalid_op 0
		.amdhsa_exception_fp_denorm_src 0
		.amdhsa_exception_fp_ieee_div_zero 0
		.amdhsa_exception_fp_ieee_overflow 0
		.amdhsa_exception_fp_ieee_underflow 0
		.amdhsa_exception_fp_ieee_inexact 0
		.amdhsa_exception_int_div_zero 0
	.end_amdhsa_kernel
	.section	.text._ZL16k_set_rows_quantIl10block_q8_0Li32ETnPFvPKfPT0_EXadL_ZL23quantize_f32_q8_0_blockS2_PS0_EEEvS2_PKT_S4_llllllllllllll15HIP_vector_typeIjLj3EESC_SC_SC_SC_,"axG",@progbits,_ZL16k_set_rows_quantIl10block_q8_0Li32ETnPFvPKfPT0_EXadL_ZL23quantize_f32_q8_0_blockS2_PS0_EEEvS2_PKT_S4_llllllllllllll15HIP_vector_typeIjLj3EESC_SC_SC_SC_,comdat
.Lfunc_end7:
	.size	_ZL16k_set_rows_quantIl10block_q8_0Li32ETnPFvPKfPT0_EXadL_ZL23quantize_f32_q8_0_blockS2_PS0_EEEvS2_PKT_S4_llllllllllllll15HIP_vector_typeIjLj3EESC_SC_SC_SC_, .Lfunc_end7-_ZL16k_set_rows_quantIl10block_q8_0Li32ETnPFvPKfPT0_EXadL_ZL23quantize_f32_q8_0_blockS2_PS0_EEEvS2_PKT_S4_llllllllllllll15HIP_vector_typeIjLj3EESC_SC_SC_SC_
                                        ; -- End function
	.section	.AMDGPU.csdata,"",@progbits
; Kernel info:
; codeLenInByte = 3052
; NumSgprs: 44
; NumVgprs: 42
; NumAgprs: 0
; TotalNumVgprs: 42
; ScratchSize: 0
; MemoryBound: 0
; FloatMode: 240
; IeeeMode: 1
; LDSByteSize: 0 bytes/workgroup (compile time only)
; SGPRBlocks: 5
; VGPRBlocks: 5
; NumSGPRsForWavesPerEU: 44
; NumVGPRsForWavesPerEU: 42
; AccumOffset: 44
; Occupancy: 8
; WaveLimiterHint : 1
; COMPUTE_PGM_RSRC2:SCRATCH_EN: 0
; COMPUTE_PGM_RSRC2:USER_SGPR: 6
; COMPUTE_PGM_RSRC2:TRAP_HANDLER: 0
; COMPUTE_PGM_RSRC2:TGID_X_EN: 1
; COMPUTE_PGM_RSRC2:TGID_Y_EN: 0
; COMPUTE_PGM_RSRC2:TGID_Z_EN: 0
; COMPUTE_PGM_RSRC2:TIDIG_COMP_CNT: 0
; COMPUTE_PGM_RSRC3_GFX90A:ACCUM_OFFSET: 10
; COMPUTE_PGM_RSRC3_GFX90A:TG_SPLIT: 0
	.section	.text._ZL16k_set_rows_quantIl12block_iq4_nlLi32ETnPFvPKfPT0_EXadL_ZL25quantize_f32_iq4_nl_blockS2_PS0_EEEvS2_PKT_S4_llllllllllllll15HIP_vector_typeIjLj3EESC_SC_SC_SC_,"axG",@progbits,_ZL16k_set_rows_quantIl12block_iq4_nlLi32ETnPFvPKfPT0_EXadL_ZL25quantize_f32_iq4_nl_blockS2_PS0_EEEvS2_PKT_S4_llllllllllllll15HIP_vector_typeIjLj3EESC_SC_SC_SC_,comdat
	.globl	_ZL16k_set_rows_quantIl12block_iq4_nlLi32ETnPFvPKfPT0_EXadL_ZL25quantize_f32_iq4_nl_blockS2_PS0_EEEvS2_PKT_S4_llllllllllllll15HIP_vector_typeIjLj3EESC_SC_SC_SC_ ; -- Begin function _ZL16k_set_rows_quantIl12block_iq4_nlLi32ETnPFvPKfPT0_EXadL_ZL25quantize_f32_iq4_nl_blockS2_PS0_EEEvS2_PKT_S4_llllllllllllll15HIP_vector_typeIjLj3EESC_SC_SC_SC_
	.p2align	8
	.type	_ZL16k_set_rows_quantIl12block_iq4_nlLi32ETnPFvPKfPT0_EXadL_ZL25quantize_f32_iq4_nl_blockS2_PS0_EEEvS2_PKT_S4_llllllllllllll15HIP_vector_typeIjLj3EESC_SC_SC_SC_,@function
_ZL16k_set_rows_quantIl12block_iq4_nlLi32ETnPFvPKfPT0_EXadL_ZL25quantize_f32_iq4_nl_blockS2_PS0_EEEvS2_PKT_S4_llllllllllllll15HIP_vector_typeIjLj3EESC_SC_SC_SC_: ; @_ZL16k_set_rows_quantIl12block_iq4_nlLi32ETnPFvPKfPT0_EXadL_ZL25quantize_f32_iq4_nl_blockS2_PS0_EEEvS2_PKT_S4_llllllllllllll15HIP_vector_typeIjLj3EESC_SC_SC_SC_
; %bb.0:
	s_load_dword s2, s[4:5], 0xd4
	s_load_dwordx2 s[0:1], s[4:5], 0x18
	v_mov_b32_e32 v1, 0
	v_mov_b32_e32 v2, s6
	s_waitcnt lgkmcnt(0)
	s_and_b32 s2, s2, 0xffff
	v_mad_u64_u32 v[2:3], s[2:3], s2, v2, v[0:1]
	v_cmp_gt_i64_e32 vcc, s[0:1], v[2:3]
	s_and_saveexec_b64 s[0:1], vcc
	s_cbranch_execz .LBB8_16
; %bb.1:
	s_load_dwordx4 s[0:3], s[4:5], 0x0
	s_load_dwordx2 s[6:7], s[4:5], 0x10
	s_load_dwordx16 s[8:23], s[4:5], 0x40
	s_load_dwordx8 s[24:31], s[4:5], 0x88
	s_load_dword s33, s[4:5], 0xc0
	s_load_dwordx2 s[34:35], s[4:5], 0xb8
	s_load_dwordx4 s[36:39], s[4:5], 0xa8
	v_lshlrev_b32_e32 v6, 5, v2
	s_waitcnt lgkmcnt(0)
	v_mul_hi_u32 v0, s24, v6
	v_add_u32_e32 v0, v6, v0
	v_lshrrev_b32_e32 v7, s25, v0
	v_mul_hi_u32 v0, v7, s27
	v_add_u32_e32 v0, v7, v0
	v_lshrrev_b32_e32 v0, s28, v0
	v_mul_lo_u32 v2, v0, s29
	v_sub_u32_e32 v10, v7, v2
	v_mul_hi_u32 v2, v0, s30
	v_add_u32_e32 v2, v0, v2
	v_lshrrev_b32_e32 v13, s31, v2
	v_mul_lo_u32 v2, v13, s36
	v_sub_u32_e32 v14, v0, v2
	v_mul_hi_u32 v0, v13, s34
	v_add_u32_e32 v0, v13, v0
	v_lshrrev_b32_e32 v0, s35, v0
	v_mul_lo_u32 v0, v0, s33
	v_sub_u32_e32 v8, v13, v0
	v_mul_hi_u32 v0, v14, s37
	v_add_u32_e32 v0, v14, v0
	v_lshrrev_b32_e32 v0, s38, v0
	v_mul_lo_u32 v0, v0, s39
	v_mad_u64_u32 v[2:3], s[24:25], v10, s14, 0
	v_sub_u32_e32 v9, v14, v0
	v_mov_b32_e32 v0, v3
	v_mad_u64_u32 v[4:5], s[14:15], v10, s15, v[0:1]
	v_mov_b32_e32 v3, v4
	v_lshlrev_b64 v[2:3], 3, v[2:3]
	v_mov_b32_e32 v0, s3
	v_add_co_u32_e32 v11, vcc, s2, v2
	v_addc_co_u32_e32 v12, vcc, v0, v3, vcc
	v_mad_u64_u32 v[2:3], s[2:3], v9, s16, 0
	v_mov_b32_e32 v0, v3
	v_mad_u64_u32 v[4:5], s[2:3], v9, s17, v[0:1]
	v_mov_b32_e32 v3, v4
	v_lshlrev_b64 v[2:3], 3, v[2:3]
	v_add_co_u32_e32 v9, vcc, v11, v2
	v_addc_co_u32_e32 v11, vcc, v12, v3, vcc
	v_mad_u64_u32 v[2:3], s[2:3], v8, s18, 0
	v_mov_b32_e32 v0, v3
	v_mad_u64_u32 v[4:5], s[2:3], v8, s19, v[0:1]
	v_mov_b32_e32 v3, v4
	v_lshlrev_b64 v[2:3], 3, v[2:3]
	v_add_co_u32_e32 v2, vcc, v9, v2
	v_addc_co_u32_e32 v3, vcc, v11, v3, vcc
	global_load_dwordx2 v[2:3], v[2:3], off
	v_mul_lo_u32 v0, v7, s26
	v_mad_u64_u32 v[4:5], s[14:15], v10, s8, 0
	v_sub_u32_e32 v0, v6, v0
	v_mov_b32_e32 v6, v5
	v_mad_u64_u32 v[8:9], s[14:15], v13, s12, 0
	v_mad_u64_u32 v[6:7], s[8:9], v10, s9, v[6:7]
	v_mov_b32_e32 v10, v9
	v_mov_b32_e32 v5, v6
	v_mad_u64_u32 v[6:7], s[8:9], v14, s10, 0
	v_mad_u64_u32 v[10:11], s[8:9], v13, s13, v[10:11]
	v_lshlrev_b64 v[4:5], 2, v[4:5]
	v_mov_b32_e32 v15, s1
	v_mov_b32_e32 v12, v7
	;; [unrolled: 1-line block ×3, first 2 shown]
	v_add_co_u32_e32 v10, vcc, s0, v4
	v_addc_co_u32_e32 v11, vcc, v15, v5, vcc
	v_mad_u64_u32 v[4:5], s[0:1], v14, s11, v[12:13]
	v_mov_b32_e32 v7, v4
	v_lshlrev_b64 v[4:5], 2, v[6:7]
	s_load_dwordx2 s[4:5], s[4:5], 0x80
	v_add_co_u32_e32 v4, vcc, v10, v4
	v_lshlrev_b64 v[8:9], 2, v[8:9]
	v_addc_co_u32_e32 v5, vcc, v11, v5, vcc
	v_add_co_u32_e32 v6, vcc, v4, v8
	v_addc_co_u32_e32 v7, vcc, v5, v9, vcc
	s_mov_b32 s3, 0
	s_mov_b32 s11, 0x42e20000
	s_waitcnt vmcnt(0)
	v_mul_lo_u32 v4, v3, s20
	v_mul_lo_u32 v5, v2, s21
	v_mad_u64_u32 v[2:3], s[0:1], v2, s20, 0
	v_add3_u32 v3, v3, v5, v4
	s_waitcnt lgkmcnt(0)
	v_mad_u64_u32 v[2:3], s[0:1], v13, s4, v[2:3]
	v_mov_b32_e32 v4, v3
	v_mad_u64_u32 v[4:5], s[0:1], v13, s5, v[4:5]
	v_mov_b32_e32 v3, v4
	;; [unrolled: 2-line block ×3, first 2 shown]
	v_mad_u64_u32 v[22:23], s[0:1], v14, s23, v[2:3]
	v_lshlrev_b64 v[2:3], 2, v[0:1]
	s_add_u32 s0, 0, 0x38e27e00
	v_add_co_u32_e32 v10, vcc, v6, v2
	s_addc_u32 s1, 0, 62
	v_addc_co_u32_e32 v11, vcc, v7, v3, vcc
	s_add_i32 s1, s1, 0xe38e350
	s_mul_hi_u32 s8, s0, 0xffffffee
	global_load_dwordx4 v[6:9], v[10:11], off offset:16
	global_load_dwordx4 v[12:15], v[10:11], off
	s_sub_i32 s8, s8, s0
	s_mul_i32 s9, s1, 0xffffffee
	s_mul_i32 s2, s0, 0xffffffee
	s_add_i32 s8, s8, s9
	s_mul_hi_u32 s4, s1, s2
	s_mul_i32 s5, s1, s2
	s_mul_i32 s10, s0, s8
	s_mul_hi_u32 s2, s0, s2
	s_mul_hi_u32 s9, s0, s8
	s_add_u32 s2, s2, s10
	s_addc_u32 s9, 0, s9
	s_add_u32 s2, s2, s5
	s_mul_hi_u32 s10, s1, s8
	s_addc_u32 s2, s9, s4
	s_addc_u32 s4, s10, 0
	s_mul_i32 s5, s1, s8
	s_add_u32 s2, s2, s5
	v_mov_b32_e32 v2, s2
	s_addc_u32 s4, 0, s4
	v_add_co_u32_e32 v21, vcc, s0, v2
	s_cmp_lg_u64 vcc, 0
	s_addc_u32 s2, s1, s4
	v_mad_u64_u32 v[2:3], s[0:1], v20, s2, 0
	v_mul_hi_u32 v4, v20, v21
	v_add_co_u32_e32 v23, vcc, v4, v2
	v_addc_co_u32_e32 v28, vcc, 0, v3, vcc
	global_load_dwordx4 v[2:5], v[10:11], off offset:48
	global_load_dwordx4 v[16:19], v[10:11], off offset:32
	v_mad_u64_u32 v[24:25], s[0:1], v22, v21, 0
	v_add_co_u32_e32 v21, vcc, v23, v24
	v_mad_u64_u32 v[26:27], s[0:1], v22, s2, 0
	v_addc_co_u32_e32 v21, vcc, v28, v25, vcc
	v_addc_co_u32_e32 v23, vcc, 0, v27, vcc
	v_add_co_u32_e32 v36, vcc, v21, v26
	v_mad_u64_u32 v[24:25], s[0:1], v36, 18, 0
	v_addc_co_u32_e32 v37, vcc, 0, v23, vcc
	v_mov_b32_e32 v26, v25
	v_mad_u64_u32 v[26:27], s[0:1], v37, 18, v[26:27]
	v_sub_co_u32_e32 v28, vcc, v20, v24
	v_subb_co_u32_e32 v29, vcc, v22, v26, vcc
	global_load_dwordx4 v[20:23], v[10:11], off offset:80
	global_load_dwordx4 v[24:27], v[10:11], off offset:64
	v_subrev_co_u32_e32 v30, vcc, 18, v28
	v_subbrev_co_u32_e32 v31, vcc, 0, v29, vcc
	v_cmp_lt_u32_e32 vcc, 17, v30
	v_cndmask_b32_e64 v30, 0, -1, vcc
	v_cmp_eq_u32_e32 vcc, 0, v31
	v_cndmask_b32_e32 v30, -1, v30, vcc
	v_add_co_u32_e32 v38, vcc, 2, v36
	v_addc_co_u32_e32 v31, vcc, 0, v37, vcc
	v_add_co_u32_e32 v39, vcc, 1, v36
	v_addc_co_u32_e32 v32, vcc, 0, v37, vcc
	v_cmp_lt_u32_e64 s[0:1], 17, v28
	v_cmp_ne_u32_e32 vcc, 0, v30
	v_cndmask_b32_e64 v28, 0, -1, s[0:1]
	v_cmp_eq_u32_e64 s[0:1], 0, v29
	v_cndmask_b32_e32 v40, v32, v31, vcc
	v_cndmask_b32_e64 v41, -1, v28, s[0:1]
	global_load_dwordx4 v[28:31], v[10:11], off offset:112
	global_load_dwordx4 v[32:35], v[10:11], off offset:96
	v_cmp_ne_u32_e64 s[0:1], 0, v41
	v_cndmask_b32_e64 v40, v37, v40, s[0:1]
	v_cndmask_b32_e32 v37, v39, v38, vcc
	v_cndmask_b32_e64 v36, v36, v37, s[0:1]
	v_mad_u64_u32 v[36:37], s[0:1], v36, 18, s[6:7]
	s_waitcnt vmcnt(6)
	v_cmp_lg_f32_e32 vcc, 0, v12
	v_mov_b32_e32 v38, v37
	v_cndmask_b32_e32 v37, 0, v12, vcc
	v_cndmask_b32_e64 v12, 0, |v12|, vcc
	v_cmp_lt_f32_e64 vcc, v12, |v13|
	v_cndmask_b32_e64 v12, v12, |v13|, vcc
	v_cndmask_b32_e32 v37, v37, v13, vcc
	v_cmp_lt_f32_e64 vcc, v12, |v14|
	v_cndmask_b32_e64 v12, v12, |v14|, vcc
	v_cndmask_b32_e32 v13, v37, v14, vcc
	;; [unrolled: 3-line block ×3, first 2 shown]
	v_cmp_lt_f32_e64 vcc, v12, |v6|
	v_cndmask_b32_e32 v13, v13, v6, vcc
	v_cndmask_b32_e64 v6, v12, |v6|, vcc
	v_cmp_lt_f32_e64 vcc, v6, |v7|
	v_cndmask_b32_e64 v6, v6, |v7|, vcc
	v_cndmask_b32_e32 v12, v13, v7, vcc
	v_cmp_lt_f32_e64 vcc, v6, |v8|
	v_cndmask_b32_e64 v6, v6, |v8|, vcc
	v_cndmask_b32_e32 v7, v12, v8, vcc
	;; [unrolled: 3-line block ×3, first 2 shown]
	s_mov_b32 s10, 0xc2fe0000
	s_waitcnt vmcnt(4)
	v_cmp_lt_f32_e64 vcc, v6, |v16|
	v_cndmask_b32_e64 v6, v6, |v16|, vcc
	v_cndmask_b32_e32 v7, v7, v16, vcc
	v_cmp_lt_f32_e64 vcc, v6, |v17|
	v_cndmask_b32_e64 v6, v6, |v17|, vcc
	v_cndmask_b32_e32 v7, v7, v17, vcc
	;; [unrolled: 3-line block ×4, first 2 shown]
	v_cmp_lt_f32_e64 vcc, v6, |v2|
	v_cndmask_b32_e32 v7, v7, v2, vcc
	v_cndmask_b32_e64 v2, v6, |v2|, vcc
	v_cmp_lt_f32_e64 vcc, v2, |v3|
	v_cndmask_b32_e64 v2, v2, |v3|, vcc
	v_cndmask_b32_e32 v6, v7, v3, vcc
	v_cmp_lt_f32_e64 vcc, v2, |v4|
	v_cndmask_b32_e64 v2, v2, |v4|, vcc
	v_cndmask_b32_e32 v3, v6, v4, vcc
	;; [unrolled: 3-line block ×3, first 2 shown]
	s_waitcnt vmcnt(2)
	v_cmp_lt_f32_e64 vcc, v2, |v24|
	v_cndmask_b32_e64 v2, v2, |v24|, vcc
	v_cndmask_b32_e32 v3, v3, v24, vcc
	v_cmp_lt_f32_e64 vcc, v2, |v25|
	v_cndmask_b32_e64 v2, v2, |v25|, vcc
	v_cndmask_b32_e32 v3, v3, v25, vcc
	;; [unrolled: 3-line block ×8, first 2 shown]
	s_waitcnt vmcnt(0)
	v_cmp_lt_f32_e64 vcc, v2, |v32|
	v_cndmask_b32_e64 v2, v2, |v32|, vcc
	v_cndmask_b32_e32 v3, v3, v32, vcc
	v_cmp_lt_f32_e64 vcc, v2, |v33|
	v_cndmask_b32_e64 v2, v2, |v33|, vcc
	v_cndmask_b32_e32 v3, v3, v33, vcc
	;; [unrolled: 3-line block ×7, first 2 shown]
	v_cmp_lt_f32_e64 vcc, v2, |v31|
	v_cndmask_b32_e32 v4, v3, v31, vcc
	v_div_scale_f32 v5, s[0:1], s10, s10, v4
	v_rcp_f32_e32 v6, v5
	v_mad_u64_u32 v[2:3], s[0:1], v40, 18, v[38:39]
	v_mov_b32_e32 v37, v2
	v_fma_f32 v2, -v5, v6, 1.0
	v_fmac_f32_e32 v6, v2, v6
	v_div_scale_f32 v2, vcc, v4, s10, v4
	v_mul_f32_e32 v3, v2, v6
	v_fma_f32 v7, -v5, v3, v2
	v_fmac_f32_e32 v3, v7, v6
	v_fma_f32 v2, -v5, v3, v2
	v_div_fmas_f32 v2, v2, v6, v3
	v_div_fixup_f32 v4, v2, s10, v4
	v_div_scale_f32 v5, s[0:1], v4, v4, 1.0
	v_rcp_f32_e32 v6, v5
	v_lshrrev_b32_e32 v0, 5, v0
	v_mad_u64_u32 v[2:3], s[0:1], v0, 18, v[36:37]
	v_fma_f32 v0, -v5, v6, 1.0
	v_fmac_f32_e32 v6, v0, v6
	v_div_scale_f32 v0, vcc, 1.0, v4, 1.0
	v_mul_f32_e32 v7, v0, v6
	v_fma_f32 v8, -v5, v7, v0
	v_fmac_f32_e32 v7, v8, v6
	v_fma_f32 v0, -v5, v7, v0
	v_div_fmas_f32 v0, v0, v6, v7
	v_div_fixup_f32 v0, v0, v4, 1.0
	v_cmp_neq_f32_e32 vcc, 0, v4
	v_cndmask_b32_e32 v5, 0, v0, vcc
	v_add_co_u32_e32 v6, vcc, 2, v2
	v_addc_co_u32_e32 v7, vcc, 0, v3, vcc
	v_mov_b32_e32 v0, 0
	s_mov_b32 s2, s3
	s_branch .LBB8_4
.LBB8_2:                                ;   in Loop: Header=BB8_4 Depth=1
	s_or_b64 exec, exec, s[4:5]
.LBB8_3:                                ;   in Loop: Header=BB8_4 Depth=1
	s_or_b64 exec, exec, s[0:1]
	v_and_b32_e32 v14, 0xff, v13
	s_getpc_b64 s[0:1]
	s_add_u32 s0, s0, _ZL13kvalues_iq4nl@rel32@lo+4
	s_addc_u32 s1, s1, _ZL13kvalues_iq4nl@rel32@hi+12
	v_and_b32_e32 v15, 0xff, v12
	global_load_sbyte v16, v14, s[0:1]
	global_load_sbyte v17, v15, s[0:1]
	v_lshl_or_b32 v14, v12, 4, v13
	v_mov_b32_e32 v13, s3
	v_add_co_u32_e32 v12, vcc, s2, v6
	v_mul_f32_e32 v18, v9, v9
	v_addc_co_u32_e32 v13, vcc, v7, v13, vcc
	v_mul_f32_e32 v15, v8, v8
	global_store_byte v[12:13], v14, off
	s_add_i32 s2, s2, 1
	s_cmp_lg_u32 s2, 16
	s_waitcnt vmcnt(2)
	v_cvt_f32_i32_e32 v16, v16
	s_waitcnt vmcnt(1)
	v_cvt_f32_i32_e32 v17, v17
	v_mul_f32_e32 v12, v15, v16
	v_mul_f32_e32 v13, v18, v17
	;; [unrolled: 1-line block ×4, first 2 shown]
	v_fmac_f32_e32 v9, v8, v12
	v_fmac_f32_e32 v13, v12, v16
	v_add_f32_e32 v1, v1, v9
	v_add_f32_e32 v0, v0, v13
	s_cbranch_scc0 .LBB8_15
.LBB8_4:                                ; =>This Loop Header: Depth=1
                                        ;     Child Loop BB8_7 Depth 2
                                        ;     Child Loop BB8_13 Depth 2
	s_lshl_b64 s[0:1], s[2:3], 2
	v_mov_b32_e32 v8, s1
	v_add_co_u32_e32 v12, vcc, s0, v10
	v_addc_co_u32_e32 v13, vcc, v11, v8, vcc
	global_load_dword v8, v[12:13], off
	global_load_dword v9, v[12:13], off offset:64
	v_mov_b32_e32 v12, 0
	v_mov_b32_e32 v13, 0
	s_waitcnt vmcnt(1)
	v_mul_f32_e32 v14, v5, v8
	v_cmp_nge_f32_e32 vcc, s10, v14
	s_and_saveexec_b64 s[0:1], vcc
	s_cbranch_execz .LBB8_10
; %bb.5:                                ;   in Loop: Header=BB8_4 Depth=1
	v_cmp_nle_f32_e32 vcc, s11, v14
	v_mov_b32_e32 v13, 15
	s_and_saveexec_b64 s[4:5], vcc
	s_cbranch_execz .LBB8_9
; %bb.6:                                ;   in Loop: Header=BB8_4 Depth=1
	s_mov_b64 s[6:7], 0
	v_mov_b32_e32 v13, 15
	v_mov_b32_e32 v15, 0
.LBB8_7:                                ;   Parent Loop BB8_4 Depth=1
                                        ; =>  This Inner Loop Header: Depth=2
	v_add_u32_e32 v16, v15, v13
	v_lshrrev_b32_e32 v17, 31, v16
	v_add_u32_e32 v16, v16, v17
	s_getpc_b64 s[8:9]
	s_add_u32 s8, s8, _ZL13kvalues_iq4nl@rel32@lo+4
	s_addc_u32 s9, s9, _ZL13kvalues_iq4nl@rel32@hi+12
	v_ashrrev_i32_e32 v19, 1, v16
	v_mov_b32_e32 v18, s9
	v_ashrrev_i32_e32 v17, 31, v19
	v_add_co_u32_e32 v16, vcc, s8, v19
	v_addc_co_u32_e32 v17, vcc, v17, v18, vcc
	global_load_sbyte v16, v[16:17], off
	s_waitcnt vmcnt(0)
	v_cvt_f32_i32_e32 v16, v16
	v_cmp_lt_f32_e32 vcc, v14, v16
	v_cndmask_b32_e32 v15, v19, v15, vcc
	v_cndmask_b32_e32 v13, v13, v19, vcc
	v_sub_u32_e32 v16, v13, v15
	v_cmp_gt_i32_e32 vcc, 2, v16
	s_or_b64 s[6:7], vcc, s[6:7]
	s_andn2_b64 exec, exec, s[6:7]
	s_cbranch_execnz .LBB8_7
; %bb.8:                                ;   in Loop: Header=BB8_4 Depth=1
	s_or_b64 exec, exec, s[6:7]
	v_add_u32_e32 v15, -1, v13
	v_ashrrev_i32_e32 v17, 31, v15
	v_mov_b32_e32 v19, s9
	v_add_co_u32_e32 v16, vcc, s8, v15
	v_addc_co_u32_e32 v17, vcc, v17, v19, vcc
	v_ashrrev_i32_e32 v20, 31, v13
	v_add_co_u32_e32 v18, vcc, s8, v13
	v_addc_co_u32_e32 v19, vcc, v20, v19, vcc
	global_load_sbyte v20, v[16:17], off
	global_load_sbyte v21, v[18:19], off
	s_waitcnt vmcnt(1)
	v_cvt_f32_i32_e32 v16, v20
	s_waitcnt vmcnt(0)
	v_cvt_f32_i32_e32 v17, v21
	v_sub_f32_e32 v16, v14, v16
	v_sub_f32_e32 v14, v17, v14
	v_cmp_lt_f32_e32 vcc, v16, v14
	v_cndmask_b32_e32 v13, v13, v15, vcc
.LBB8_9:                                ;   in Loop: Header=BB8_4 Depth=1
	s_or_b64 exec, exec, s[4:5]
.LBB8_10:                               ;   in Loop: Header=BB8_4 Depth=1
	s_or_b64 exec, exec, s[0:1]
	s_waitcnt vmcnt(0)
	v_mul_f32_e32 v14, v5, v9
	v_cmp_nge_f32_e32 vcc, s10, v14
	s_and_saveexec_b64 s[0:1], vcc
	s_cbranch_execz .LBB8_3
; %bb.11:                               ;   in Loop: Header=BB8_4 Depth=1
	v_cmp_nle_f32_e32 vcc, s11, v14
	v_mov_b32_e32 v12, 15
	s_and_saveexec_b64 s[4:5], vcc
	s_cbranch_execz .LBB8_2
; %bb.12:                               ;   in Loop: Header=BB8_4 Depth=1
	s_mov_b64 s[6:7], 0
	v_mov_b32_e32 v12, 15
	v_mov_b32_e32 v15, 0
.LBB8_13:                               ;   Parent Loop BB8_4 Depth=1
                                        ; =>  This Inner Loop Header: Depth=2
	v_add_u32_e32 v16, v15, v12
	v_lshrrev_b32_e32 v17, 31, v16
	v_add_u32_e32 v16, v16, v17
	s_getpc_b64 s[8:9]
	s_add_u32 s8, s8, _ZL13kvalues_iq4nl@rel32@lo+4
	s_addc_u32 s9, s9, _ZL13kvalues_iq4nl@rel32@hi+12
	v_ashrrev_i32_e32 v19, 1, v16
	v_mov_b32_e32 v18, s9
	v_ashrrev_i32_e32 v17, 31, v19
	v_add_co_u32_e32 v16, vcc, s8, v19
	v_addc_co_u32_e32 v17, vcc, v17, v18, vcc
	global_load_sbyte v16, v[16:17], off
	s_waitcnt vmcnt(0)
	v_cvt_f32_i32_e32 v16, v16
	v_cmp_lt_f32_e32 vcc, v14, v16
	v_cndmask_b32_e32 v15, v19, v15, vcc
	v_cndmask_b32_e32 v12, v12, v19, vcc
	v_sub_u32_e32 v16, v12, v15
	v_cmp_gt_i32_e32 vcc, 2, v16
	s_or_b64 s[6:7], vcc, s[6:7]
	s_andn2_b64 exec, exec, s[6:7]
	s_cbranch_execnz .LBB8_13
; %bb.14:                               ;   in Loop: Header=BB8_4 Depth=1
	s_or_b64 exec, exec, s[6:7]
	v_add_u32_e32 v15, -1, v12
	v_ashrrev_i32_e32 v17, 31, v15
	v_mov_b32_e32 v19, s9
	v_add_co_u32_e32 v16, vcc, s8, v15
	v_addc_co_u32_e32 v17, vcc, v17, v19, vcc
	v_ashrrev_i32_e32 v20, 31, v12
	v_add_co_u32_e32 v18, vcc, s8, v12
	v_addc_co_u32_e32 v19, vcc, v20, v19, vcc
	global_load_sbyte v20, v[16:17], off
	global_load_sbyte v21, v[18:19], off
	s_waitcnt vmcnt(1)
	v_cvt_f32_i32_e32 v16, v20
	s_waitcnt vmcnt(0)
	v_cvt_f32_i32_e32 v17, v21
	v_sub_f32_e32 v16, v14, v16
	v_sub_f32_e32 v14, v17, v14
	v_cmp_lt_f32_e32 vcc, v16, v14
	v_cndmask_b32_e32 v12, v12, v15, vcc
	s_branch .LBB8_2
.LBB8_15:
	v_div_scale_f32 v5, s[0:1], v0, v0, v1
	v_rcp_f32_e32 v6, v5
	v_div_scale_f32 v7, vcc, v1, v0, v1
	v_fma_f32 v8, -v5, v6, 1.0
	v_fmac_f32_e32 v6, v8, v6
	v_mul_f32_e32 v8, v7, v6
	v_fma_f32 v9, -v5, v8, v7
	v_fmac_f32_e32 v8, v9, v6
	v_fma_f32 v5, -v5, v8, v7
	v_div_fmas_f32 v5, v5, v6, v8
	v_div_fixup_f32 v1, v5, v0, v1
	v_cmp_lt_f32_e32 vcc, 0, v0
	v_cndmask_b32_e32 v0, v4, v1, vcc
	v_cvt_f16_f32_e32 v0, v0
	global_store_short v[2:3], v0, off
.LBB8_16:
	s_endpgm
	.section	.rodata,"a",@progbits
	.p2align	6, 0x0
	.amdhsa_kernel _ZL16k_set_rows_quantIl12block_iq4_nlLi32ETnPFvPKfPT0_EXadL_ZL25quantize_f32_iq4_nl_blockS2_PS0_EEEvS2_PKT_S4_llllllllllllll15HIP_vector_typeIjLj3EESC_SC_SC_SC_
		.amdhsa_group_segment_fixed_size 0
		.amdhsa_private_segment_fixed_size 0
		.amdhsa_kernarg_size 456
		.amdhsa_user_sgpr_count 6
		.amdhsa_user_sgpr_private_segment_buffer 1
		.amdhsa_user_sgpr_dispatch_ptr 0
		.amdhsa_user_sgpr_queue_ptr 0
		.amdhsa_user_sgpr_kernarg_segment_ptr 1
		.amdhsa_user_sgpr_dispatch_id 0
		.amdhsa_user_sgpr_flat_scratch_init 0
		.amdhsa_user_sgpr_kernarg_preload_length 0
		.amdhsa_user_sgpr_kernarg_preload_offset 0
		.amdhsa_user_sgpr_private_segment_size 0
		.amdhsa_uses_dynamic_stack 0
		.amdhsa_system_sgpr_private_segment_wavefront_offset 0
		.amdhsa_system_sgpr_workgroup_id_x 1
		.amdhsa_system_sgpr_workgroup_id_y 0
		.amdhsa_system_sgpr_workgroup_id_z 0
		.amdhsa_system_sgpr_workgroup_info 0
		.amdhsa_system_vgpr_workitem_id 0
		.amdhsa_next_free_vgpr 42
		.amdhsa_next_free_sgpr 40
		.amdhsa_accum_offset 44
		.amdhsa_reserve_vcc 1
		.amdhsa_reserve_flat_scratch 0
		.amdhsa_float_round_mode_32 0
		.amdhsa_float_round_mode_16_64 0
		.amdhsa_float_denorm_mode_32 3
		.amdhsa_float_denorm_mode_16_64 3
		.amdhsa_dx10_clamp 1
		.amdhsa_ieee_mode 1
		.amdhsa_fp16_overflow 0
		.amdhsa_tg_split 0
		.amdhsa_exception_fp_ieee_invalid_op 0
		.amdhsa_exception_fp_denorm_src 0
		.amdhsa_exception_fp_ieee_div_zero 0
		.amdhsa_exception_fp_ieee_overflow 0
		.amdhsa_exception_fp_ieee_underflow 0
		.amdhsa_exception_fp_ieee_inexact 0
		.amdhsa_exception_int_div_zero 0
	.end_amdhsa_kernel
	.section	.text._ZL16k_set_rows_quantIl12block_iq4_nlLi32ETnPFvPKfPT0_EXadL_ZL25quantize_f32_iq4_nl_blockS2_PS0_EEEvS2_PKT_S4_llllllllllllll15HIP_vector_typeIjLj3EESC_SC_SC_SC_,"axG",@progbits,_ZL16k_set_rows_quantIl12block_iq4_nlLi32ETnPFvPKfPT0_EXadL_ZL25quantize_f32_iq4_nl_blockS2_PS0_EEEvS2_PKT_S4_llllllllllllll15HIP_vector_typeIjLj3EESC_SC_SC_SC_,comdat
.Lfunc_end8:
	.size	_ZL16k_set_rows_quantIl12block_iq4_nlLi32ETnPFvPKfPT0_EXadL_ZL25quantize_f32_iq4_nl_blockS2_PS0_EEEvS2_PKT_S4_llllllllllllll15HIP_vector_typeIjLj3EESC_SC_SC_SC_, .Lfunc_end8-_ZL16k_set_rows_quantIl12block_iq4_nlLi32ETnPFvPKfPT0_EXadL_ZL25quantize_f32_iq4_nl_blockS2_PS0_EEEvS2_PKT_S4_llllllllllllll15HIP_vector_typeIjLj3EESC_SC_SC_SC_
                                        ; -- End function
	.section	.AMDGPU.csdata,"",@progbits
; Kernel info:
; codeLenInByte = 2652
; NumSgprs: 44
; NumVgprs: 42
; NumAgprs: 0
; TotalNumVgprs: 42
; ScratchSize: 0
; MemoryBound: 0
; FloatMode: 240
; IeeeMode: 1
; LDSByteSize: 0 bytes/workgroup (compile time only)
; SGPRBlocks: 5
; VGPRBlocks: 5
; NumSGPRsForWavesPerEU: 44
; NumVGPRsForWavesPerEU: 42
; AccumOffset: 44
; Occupancy: 8
; WaveLimiterHint : 1
; COMPUTE_PGM_RSRC2:SCRATCH_EN: 0
; COMPUTE_PGM_RSRC2:USER_SGPR: 6
; COMPUTE_PGM_RSRC2:TRAP_HANDLER: 0
; COMPUTE_PGM_RSRC2:TGID_X_EN: 1
; COMPUTE_PGM_RSRC2:TGID_Y_EN: 0
; COMPUTE_PGM_RSRC2:TGID_Z_EN: 0
; COMPUTE_PGM_RSRC2:TIDIG_COMP_CNT: 0
; COMPUTE_PGM_RSRC3_GFX90A:ACCUM_OFFSET: 10
; COMPUTE_PGM_RSRC3_GFX90A:TG_SPLIT: 0
	.section	.text._ZL10k_set_rowsIfifEvPKT_PKT0_PT1_llllllllllllll15HIP_vector_typeIjLj3EES9_S9_S9_S9_,"axG",@progbits,_ZL10k_set_rowsIfifEvPKT_PKT0_PT1_llllllllllllll15HIP_vector_typeIjLj3EES9_S9_S9_S9_,comdat
	.globl	_ZL10k_set_rowsIfifEvPKT_PKT0_PT1_llllllllllllll15HIP_vector_typeIjLj3EES9_S9_S9_S9_ ; -- Begin function _ZL10k_set_rowsIfifEvPKT_PKT0_PT1_llllllllllllll15HIP_vector_typeIjLj3EES9_S9_S9_S9_
	.p2align	8
	.type	_ZL10k_set_rowsIfifEvPKT_PKT0_PT1_llllllllllllll15HIP_vector_typeIjLj3EES9_S9_S9_S9_,@function
_ZL10k_set_rowsIfifEvPKT_PKT0_PT1_llllllllllllll15HIP_vector_typeIjLj3EES9_S9_S9_S9_: ; @_ZL10k_set_rowsIfifEvPKT_PKT0_PT1_llllllllllllll15HIP_vector_typeIjLj3EES9_S9_S9_S9_
; %bb.0:
	s_load_dword s0, s[4:5], 0xd4
	s_load_dwordx8 s[24:31], s[4:5], 0x0
	v_mov_b32_e32 v1, 0
	v_mov_b32_e32 v2, s6
	s_waitcnt lgkmcnt(0)
	s_and_b32 s0, s0, 0xffff
	v_mad_u64_u32 v[2:3], s[0:1], s0, v2, v[0:1]
	v_cmp_gt_i64_e32 vcc, s[30:31], v[2:3]
	s_and_saveexec_b64 s[0:1], vcc
	s_cbranch_execz .LBB9_2
; %bb.1:
	s_load_dwordx8 s[36:43], s[4:5], 0x88
	s_load_dwordx16 s[8:23], s[4:5], 0x40
	s_load_dword s30, s[4:5], 0xc0
	s_load_dwordx2 s[6:7], s[4:5], 0xb8
	s_load_dwordx4 s[0:3], s[4:5], 0xa8
	s_waitcnt lgkmcnt(0)
	v_mul_hi_u32 v0, v2, s36
	v_add_u32_e32 v0, v0, v2
	v_lshrrev_b32_e32 v3, s37, v0
	v_mul_lo_u32 v0, v3, s38
	v_sub_u32_e32 v0, v2, v0
	v_mul_hi_u32 v2, v3, s39
	v_add_u32_e32 v2, v3, v2
	v_lshrrev_b32_e32 v2, s40, v2
	v_mul_lo_u32 v4, v2, s41
	v_sub_u32_e32 v6, v3, v4
	;; [unrolled: 5-line block ×5, first 2 shown]
	v_mad_u64_u32 v[2:3], s[0:1], v6, s14, 0
	v_mov_b32_e32 v4, v3
	v_mad_u64_u32 v[4:5], s[0:1], v6, s15, v[4:5]
	v_mov_b32_e32 v3, v4
	v_lshlrev_b64 v[2:3], 2, v[2:3]
	v_mov_b32_e32 v4, s27
	v_add_co_u32_e32 v11, vcc, s26, v2
	v_addc_co_u32_e32 v12, vcc, v4, v3, vcc
	v_mad_u64_u32 v[2:3], s[0:1], v10, s16, 0
	v_mov_b32_e32 v4, v3
	v_mad_u64_u32 v[4:5], s[0:1], v10, s17, v[4:5]
	v_mov_b32_e32 v3, v4
	v_lshlrev_b64 v[2:3], 2, v[2:3]
	v_add_co_u32_e32 v10, vcc, v11, v2
	v_addc_co_u32_e32 v11, vcc, v12, v3, vcc
	v_mad_u64_u32 v[2:3], s[0:1], v9, s18, 0
	v_mov_b32_e32 v4, v3
	v_mad_u64_u32 v[4:5], s[0:1], v9, s19, v[4:5]
	v_mov_b32_e32 v3, v4
	v_lshlrev_b64 v[2:3], 2, v[2:3]
	v_add_co_u32_e32 v2, vcc, v10, v2
	v_addc_co_u32_e32 v3, vcc, v11, v3, vcc
	global_load_dword v9, v[2:3], off
	v_mad_u64_u32 v[2:3], s[0:1], v6, s8, 0
	v_mov_b32_e32 v4, v3
	v_mad_u64_u32 v[4:5], s[0:1], v6, s9, v[4:5]
	v_mov_b32_e32 v3, v4
	v_lshlrev_b64 v[2:3], 2, v[2:3]
	v_mov_b32_e32 v4, s25
	v_add_co_u32_e32 v6, vcc, s24, v2
	v_addc_co_u32_e32 v10, vcc, v4, v3, vcc
	v_mad_u64_u32 v[2:3], s[0:1], v8, s10, 0
	v_mov_b32_e32 v4, v3
	v_mad_u64_u32 v[4:5], s[0:1], v8, s11, v[4:5]
	v_mov_b32_e32 v3, v4
	v_lshlrev_b64 v[2:3], 2, v[2:3]
	v_add_co_u32_e32 v6, vcc, v6, v2
	v_addc_co_u32_e32 v10, vcc, v10, v3, vcc
	v_mad_u64_u32 v[2:3], s[0:1], v7, s12, 0
	v_mov_b32_e32 v4, v3
	v_mad_u64_u32 v[4:5], s[0:1], v7, s13, v[4:5]
	v_mov_b32_e32 v3, v4
	v_lshlrev_b64 v[2:3], 2, v[2:3]
	v_add_co_u32_e32 v2, vcc, v6, v2
	v_addc_co_u32_e32 v3, vcc, v10, v3, vcc
	v_lshlrev_b64 v[0:1], 2, v[0:1]
	v_add_co_u32_e32 v2, vcc, v2, v0
	v_addc_co_u32_e32 v3, vcc, v3, v1, vcc
	global_load_dword v6, v[2:3], off
	s_load_dwordx2 s[0:1], s[4:5], 0x80
	s_waitcnt vmcnt(1)
	v_ashrrev_i32_e32 v2, 31, v9
	v_mul_lo_u32 v4, v9, s21
	v_mul_lo_u32 v5, v2, s20
	v_mad_u64_u32 v[2:3], s[2:3], v9, s20, 0
	v_add3_u32 v3, v3, v4, v5
	v_lshlrev_b64 v[2:3], 2, v[2:3]
	v_mov_b32_e32 v4, s29
	v_add_co_u32_e32 v9, vcc, s28, v2
	v_addc_co_u32_e32 v10, vcc, v4, v3, vcc
	v_mad_u64_u32 v[2:3], s[2:3], v8, s22, 0
	v_mov_b32_e32 v4, v3
	v_mad_u64_u32 v[4:5], s[2:3], v8, s23, v[4:5]
	v_mov_b32_e32 v3, v4
	v_lshlrev_b64 v[2:3], 2, v[2:3]
	v_add_co_u32_e32 v8, vcc, v9, v2
	v_addc_co_u32_e32 v9, vcc, v10, v3, vcc
	s_waitcnt lgkmcnt(0)
	v_mad_u64_u32 v[2:3], s[2:3], v7, s0, 0
	v_mov_b32_e32 v4, v3
	v_mad_u64_u32 v[4:5], s[0:1], v7, s1, v[4:5]
	v_mov_b32_e32 v3, v4
	v_lshlrev_b64 v[2:3], 2, v[2:3]
	v_add_co_u32_e32 v2, vcc, v8, v2
	v_addc_co_u32_e32 v3, vcc, v9, v3, vcc
	v_add_co_u32_e32 v0, vcc, v2, v0
	v_addc_co_u32_e32 v1, vcc, v3, v1, vcc
	s_waitcnt vmcnt(0)
	global_store_dword v[0:1], v6, off
.LBB9_2:
	s_endpgm
	.section	.rodata,"a",@progbits
	.p2align	6, 0x0
	.amdhsa_kernel _ZL10k_set_rowsIfifEvPKT_PKT0_PT1_llllllllllllll15HIP_vector_typeIjLj3EES9_S9_S9_S9_
		.amdhsa_group_segment_fixed_size 0
		.amdhsa_private_segment_fixed_size 0
		.amdhsa_kernarg_size 456
		.amdhsa_user_sgpr_count 6
		.amdhsa_user_sgpr_private_segment_buffer 1
		.amdhsa_user_sgpr_dispatch_ptr 0
		.amdhsa_user_sgpr_queue_ptr 0
		.amdhsa_user_sgpr_kernarg_segment_ptr 1
		.amdhsa_user_sgpr_dispatch_id 0
		.amdhsa_user_sgpr_flat_scratch_init 0
		.amdhsa_user_sgpr_kernarg_preload_length 0
		.amdhsa_user_sgpr_kernarg_preload_offset 0
		.amdhsa_user_sgpr_private_segment_size 0
		.amdhsa_uses_dynamic_stack 0
		.amdhsa_system_sgpr_private_segment_wavefront_offset 0
		.amdhsa_system_sgpr_workgroup_id_x 1
		.amdhsa_system_sgpr_workgroup_id_y 0
		.amdhsa_system_sgpr_workgroup_id_z 0
		.amdhsa_system_sgpr_workgroup_info 0
		.amdhsa_system_vgpr_workitem_id 0
		.amdhsa_next_free_vgpr 13
		.amdhsa_next_free_sgpr 44
		.amdhsa_accum_offset 16
		.amdhsa_reserve_vcc 1
		.amdhsa_reserve_flat_scratch 0
		.amdhsa_float_round_mode_32 0
		.amdhsa_float_round_mode_16_64 0
		.amdhsa_float_denorm_mode_32 3
		.amdhsa_float_denorm_mode_16_64 3
		.amdhsa_dx10_clamp 1
		.amdhsa_ieee_mode 1
		.amdhsa_fp16_overflow 0
		.amdhsa_tg_split 0
		.amdhsa_exception_fp_ieee_invalid_op 0
		.amdhsa_exception_fp_denorm_src 0
		.amdhsa_exception_fp_ieee_div_zero 0
		.amdhsa_exception_fp_ieee_overflow 0
		.amdhsa_exception_fp_ieee_underflow 0
		.amdhsa_exception_fp_ieee_inexact 0
		.amdhsa_exception_int_div_zero 0
	.end_amdhsa_kernel
	.section	.text._ZL10k_set_rowsIfifEvPKT_PKT0_PT1_llllllllllllll15HIP_vector_typeIjLj3EES9_S9_S9_S9_,"axG",@progbits,_ZL10k_set_rowsIfifEvPKT_PKT0_PT1_llllllllllllll15HIP_vector_typeIjLj3EES9_S9_S9_S9_,comdat
.Lfunc_end9:
	.size	_ZL10k_set_rowsIfifEvPKT_PKT0_PT1_llllllllllllll15HIP_vector_typeIjLj3EES9_S9_S9_S9_, .Lfunc_end9-_ZL10k_set_rowsIfifEvPKT_PKT0_PT1_llllllllllllll15HIP_vector_typeIjLj3EES9_S9_S9_S9_
                                        ; -- End function
	.section	.AMDGPU.csdata,"",@progbits
; Kernel info:
; codeLenInByte = 696
; NumSgprs: 48
; NumVgprs: 13
; NumAgprs: 0
; TotalNumVgprs: 13
; ScratchSize: 0
; MemoryBound: 0
; FloatMode: 240
; IeeeMode: 1
; LDSByteSize: 0 bytes/workgroup (compile time only)
; SGPRBlocks: 5
; VGPRBlocks: 1
; NumSGPRsForWavesPerEU: 48
; NumVGPRsForWavesPerEU: 13
; AccumOffset: 16
; Occupancy: 8
; WaveLimiterHint : 1
; COMPUTE_PGM_RSRC2:SCRATCH_EN: 0
; COMPUTE_PGM_RSRC2:USER_SGPR: 6
; COMPUTE_PGM_RSRC2:TRAP_HANDLER: 0
; COMPUTE_PGM_RSRC2:TGID_X_EN: 1
; COMPUTE_PGM_RSRC2:TGID_Y_EN: 0
; COMPUTE_PGM_RSRC2:TGID_Z_EN: 0
; COMPUTE_PGM_RSRC2:TIDIG_COMP_CNT: 0
; COMPUTE_PGM_RSRC3_GFX90A:ACCUM_OFFSET: 3
; COMPUTE_PGM_RSRC3_GFX90A:TG_SPLIT: 0
	.section	.text._ZL10k_set_rowsIfi6__halfEvPKT_PKT0_PT1_llllllllllllll15HIP_vector_typeIjLj3EESA_SA_SA_SA_,"axG",@progbits,_ZL10k_set_rowsIfi6__halfEvPKT_PKT0_PT1_llllllllllllll15HIP_vector_typeIjLj3EESA_SA_SA_SA_,comdat
	.globl	_ZL10k_set_rowsIfi6__halfEvPKT_PKT0_PT1_llllllllllllll15HIP_vector_typeIjLj3EESA_SA_SA_SA_ ; -- Begin function _ZL10k_set_rowsIfi6__halfEvPKT_PKT0_PT1_llllllllllllll15HIP_vector_typeIjLj3EESA_SA_SA_SA_
	.p2align	8
	.type	_ZL10k_set_rowsIfi6__halfEvPKT_PKT0_PT1_llllllllllllll15HIP_vector_typeIjLj3EESA_SA_SA_SA_,@function
_ZL10k_set_rowsIfi6__halfEvPKT_PKT0_PT1_llllllllllllll15HIP_vector_typeIjLj3EESA_SA_SA_SA_: ; @_ZL10k_set_rowsIfi6__halfEvPKT_PKT0_PT1_llllllllllllll15HIP_vector_typeIjLj3EESA_SA_SA_SA_
; %bb.0:
	s_load_dword s0, s[4:5], 0xd4
	s_load_dwordx8 s[24:31], s[4:5], 0x0
	v_mov_b32_e32 v1, 0
	v_mov_b32_e32 v2, s6
	s_waitcnt lgkmcnt(0)
	s_and_b32 s0, s0, 0xffff
	v_mad_u64_u32 v[2:3], s[0:1], s0, v2, v[0:1]
	v_cmp_gt_i64_e32 vcc, s[30:31], v[2:3]
	s_and_saveexec_b64 s[0:1], vcc
	s_cbranch_execz .LBB10_2
; %bb.1:
	s_load_dwordx8 s[36:43], s[4:5], 0x88
	s_load_dwordx16 s[8:23], s[4:5], 0x40
	s_load_dword s30, s[4:5], 0xc0
	s_load_dwordx2 s[6:7], s[4:5], 0xb8
	s_load_dwordx4 s[0:3], s[4:5], 0xa8
	s_waitcnt lgkmcnt(0)
	v_mul_hi_u32 v0, v2, s36
	v_add_u32_e32 v0, v0, v2
	v_lshrrev_b32_e32 v3, s37, v0
	v_mul_lo_u32 v0, v3, s38
	v_sub_u32_e32 v0, v2, v0
	v_mul_hi_u32 v2, v3, s39
	v_add_u32_e32 v2, v3, v2
	v_lshrrev_b32_e32 v2, s40, v2
	v_mul_lo_u32 v4, v2, s41
	v_sub_u32_e32 v6, v3, v4
	;; [unrolled: 5-line block ×5, first 2 shown]
	v_mad_u64_u32 v[2:3], s[0:1], v6, s14, 0
	v_mov_b32_e32 v4, v3
	v_mad_u64_u32 v[4:5], s[0:1], v6, s15, v[4:5]
	v_mov_b32_e32 v3, v4
	v_lshlrev_b64 v[2:3], 2, v[2:3]
	v_mov_b32_e32 v4, s27
	v_add_co_u32_e32 v11, vcc, s26, v2
	v_addc_co_u32_e32 v12, vcc, v4, v3, vcc
	v_mad_u64_u32 v[2:3], s[0:1], v10, s16, 0
	v_mov_b32_e32 v4, v3
	v_mad_u64_u32 v[4:5], s[0:1], v10, s17, v[4:5]
	v_mov_b32_e32 v3, v4
	v_lshlrev_b64 v[2:3], 2, v[2:3]
	v_add_co_u32_e32 v10, vcc, v11, v2
	v_addc_co_u32_e32 v11, vcc, v12, v3, vcc
	v_mad_u64_u32 v[2:3], s[0:1], v9, s18, 0
	v_mov_b32_e32 v4, v3
	v_mad_u64_u32 v[4:5], s[0:1], v9, s19, v[4:5]
	v_mov_b32_e32 v3, v4
	v_lshlrev_b64 v[2:3], 2, v[2:3]
	v_add_co_u32_e32 v2, vcc, v10, v2
	v_addc_co_u32_e32 v3, vcc, v11, v3, vcc
	global_load_dword v9, v[2:3], off
	v_mad_u64_u32 v[2:3], s[0:1], v6, s8, 0
	v_mov_b32_e32 v4, v3
	v_mad_u64_u32 v[4:5], s[0:1], v6, s9, v[4:5]
	v_mov_b32_e32 v3, v4
	v_lshlrev_b64 v[2:3], 2, v[2:3]
	v_mov_b32_e32 v4, s25
	v_add_co_u32_e32 v6, vcc, s24, v2
	v_addc_co_u32_e32 v10, vcc, v4, v3, vcc
	v_mad_u64_u32 v[2:3], s[0:1], v8, s10, 0
	v_mov_b32_e32 v4, v3
	v_mad_u64_u32 v[4:5], s[0:1], v8, s11, v[4:5]
	v_mov_b32_e32 v3, v4
	v_lshlrev_b64 v[2:3], 2, v[2:3]
	v_add_co_u32_e32 v6, vcc, v6, v2
	v_addc_co_u32_e32 v10, vcc, v10, v3, vcc
	v_mad_u64_u32 v[2:3], s[0:1], v7, s12, 0
	v_mov_b32_e32 v4, v3
	v_mad_u64_u32 v[4:5], s[0:1], v7, s13, v[4:5]
	v_mov_b32_e32 v3, v4
	v_lshlrev_b64 v[2:3], 2, v[2:3]
	v_add_co_u32_e32 v4, vcc, v6, v2
	v_addc_co_u32_e32 v5, vcc, v10, v3, vcc
	v_lshlrev_b64 v[2:3], 2, v[0:1]
	v_add_co_u32_e32 v2, vcc, v4, v2
	v_addc_co_u32_e32 v3, vcc, v5, v3, vcc
	global_load_dword v6, v[2:3], off
	s_load_dwordx2 s[0:1], s[4:5], 0x80
	v_lshlrev_b64 v[0:1], 1, v[0:1]
	s_waitcnt vmcnt(1)
	v_ashrrev_i32_e32 v2, 31, v9
	v_mul_lo_u32 v4, v9, s21
	v_mul_lo_u32 v5, v2, s20
	v_mad_u64_u32 v[2:3], s[2:3], v9, s20, 0
	v_add3_u32 v3, v3, v4, v5
	v_lshlrev_b64 v[2:3], 1, v[2:3]
	v_mov_b32_e32 v4, s29
	v_add_co_u32_e32 v9, vcc, s28, v2
	v_addc_co_u32_e32 v10, vcc, v4, v3, vcc
	v_mad_u64_u32 v[2:3], s[2:3], v8, s22, 0
	v_mov_b32_e32 v4, v3
	v_mad_u64_u32 v[4:5], s[2:3], v8, s23, v[4:5]
	v_mov_b32_e32 v3, v4
	v_lshlrev_b64 v[2:3], 1, v[2:3]
	v_add_co_u32_e32 v8, vcc, v9, v2
	v_addc_co_u32_e32 v9, vcc, v10, v3, vcc
	s_waitcnt lgkmcnt(0)
	v_mad_u64_u32 v[2:3], s[2:3], v7, s0, 0
	v_mov_b32_e32 v4, v3
	v_mad_u64_u32 v[4:5], s[0:1], v7, s1, v[4:5]
	v_mov_b32_e32 v3, v4
	v_lshlrev_b64 v[2:3], 1, v[2:3]
	v_add_co_u32_e32 v2, vcc, v8, v2
	v_addc_co_u32_e32 v3, vcc, v9, v3, vcc
	v_add_co_u32_e32 v0, vcc, v2, v0
	v_addc_co_u32_e32 v1, vcc, v3, v1, vcc
	s_waitcnt vmcnt(0)
	v_cvt_f16_f32_e32 v4, v6
	global_store_short v[0:1], v4, off
.LBB10_2:
	s_endpgm
	.section	.rodata,"a",@progbits
	.p2align	6, 0x0
	.amdhsa_kernel _ZL10k_set_rowsIfi6__halfEvPKT_PKT0_PT1_llllllllllllll15HIP_vector_typeIjLj3EESA_SA_SA_SA_
		.amdhsa_group_segment_fixed_size 0
		.amdhsa_private_segment_fixed_size 0
		.amdhsa_kernarg_size 456
		.amdhsa_user_sgpr_count 6
		.amdhsa_user_sgpr_private_segment_buffer 1
		.amdhsa_user_sgpr_dispatch_ptr 0
		.amdhsa_user_sgpr_queue_ptr 0
		.amdhsa_user_sgpr_kernarg_segment_ptr 1
		.amdhsa_user_sgpr_dispatch_id 0
		.amdhsa_user_sgpr_flat_scratch_init 0
		.amdhsa_user_sgpr_kernarg_preload_length 0
		.amdhsa_user_sgpr_kernarg_preload_offset 0
		.amdhsa_user_sgpr_private_segment_size 0
		.amdhsa_uses_dynamic_stack 0
		.amdhsa_system_sgpr_private_segment_wavefront_offset 0
		.amdhsa_system_sgpr_workgroup_id_x 1
		.amdhsa_system_sgpr_workgroup_id_y 0
		.amdhsa_system_sgpr_workgroup_id_z 0
		.amdhsa_system_sgpr_workgroup_info 0
		.amdhsa_system_vgpr_workitem_id 0
		.amdhsa_next_free_vgpr 13
		.amdhsa_next_free_sgpr 44
		.amdhsa_accum_offset 16
		.amdhsa_reserve_vcc 1
		.amdhsa_reserve_flat_scratch 0
		.amdhsa_float_round_mode_32 0
		.amdhsa_float_round_mode_16_64 0
		.amdhsa_float_denorm_mode_32 3
		.amdhsa_float_denorm_mode_16_64 3
		.amdhsa_dx10_clamp 1
		.amdhsa_ieee_mode 1
		.amdhsa_fp16_overflow 0
		.amdhsa_tg_split 0
		.amdhsa_exception_fp_ieee_invalid_op 0
		.amdhsa_exception_fp_denorm_src 0
		.amdhsa_exception_fp_ieee_div_zero 0
		.amdhsa_exception_fp_ieee_overflow 0
		.amdhsa_exception_fp_ieee_underflow 0
		.amdhsa_exception_fp_ieee_inexact 0
		.amdhsa_exception_int_div_zero 0
	.end_amdhsa_kernel
	.section	.text._ZL10k_set_rowsIfi6__halfEvPKT_PKT0_PT1_llllllllllllll15HIP_vector_typeIjLj3EESA_SA_SA_SA_,"axG",@progbits,_ZL10k_set_rowsIfi6__halfEvPKT_PKT0_PT1_llllllllllllll15HIP_vector_typeIjLj3EESA_SA_SA_SA_,comdat
.Lfunc_end10:
	.size	_ZL10k_set_rowsIfi6__halfEvPKT_PKT0_PT1_llllllllllllll15HIP_vector_typeIjLj3EESA_SA_SA_SA_, .Lfunc_end10-_ZL10k_set_rowsIfi6__halfEvPKT_PKT0_PT1_llllllllllllll15HIP_vector_typeIjLj3EESA_SA_SA_SA_
                                        ; -- End function
	.section	.AMDGPU.csdata,"",@progbits
; Kernel info:
; codeLenInByte = 708
; NumSgprs: 48
; NumVgprs: 13
; NumAgprs: 0
; TotalNumVgprs: 13
; ScratchSize: 0
; MemoryBound: 0
; FloatMode: 240
; IeeeMode: 1
; LDSByteSize: 0 bytes/workgroup (compile time only)
; SGPRBlocks: 5
; VGPRBlocks: 1
; NumSGPRsForWavesPerEU: 48
; NumVGPRsForWavesPerEU: 13
; AccumOffset: 16
; Occupancy: 8
; WaveLimiterHint : 1
; COMPUTE_PGM_RSRC2:SCRATCH_EN: 0
; COMPUTE_PGM_RSRC2:USER_SGPR: 6
; COMPUTE_PGM_RSRC2:TRAP_HANDLER: 0
; COMPUTE_PGM_RSRC2:TGID_X_EN: 1
; COMPUTE_PGM_RSRC2:TGID_Y_EN: 0
; COMPUTE_PGM_RSRC2:TGID_Z_EN: 0
; COMPUTE_PGM_RSRC2:TIDIG_COMP_CNT: 0
; COMPUTE_PGM_RSRC3_GFX90A:ACCUM_OFFSET: 3
; COMPUTE_PGM_RSRC3_GFX90A:TG_SPLIT: 0
	.section	.text._ZL10k_set_rowsIfi14__hip_bfloat16EvPKT_PKT0_PT1_llllllllllllll15HIP_vector_typeIjLj3EESA_SA_SA_SA_,"axG",@progbits,_ZL10k_set_rowsIfi14__hip_bfloat16EvPKT_PKT0_PT1_llllllllllllll15HIP_vector_typeIjLj3EESA_SA_SA_SA_,comdat
	.globl	_ZL10k_set_rowsIfi14__hip_bfloat16EvPKT_PKT0_PT1_llllllllllllll15HIP_vector_typeIjLj3EESA_SA_SA_SA_ ; -- Begin function _ZL10k_set_rowsIfi14__hip_bfloat16EvPKT_PKT0_PT1_llllllllllllll15HIP_vector_typeIjLj3EESA_SA_SA_SA_
	.p2align	8
	.type	_ZL10k_set_rowsIfi14__hip_bfloat16EvPKT_PKT0_PT1_llllllllllllll15HIP_vector_typeIjLj3EESA_SA_SA_SA_,@function
_ZL10k_set_rowsIfi14__hip_bfloat16EvPKT_PKT0_PT1_llllllllllllll15HIP_vector_typeIjLj3EESA_SA_SA_SA_: ; @_ZL10k_set_rowsIfi14__hip_bfloat16EvPKT_PKT0_PT1_llllllllllllll15HIP_vector_typeIjLj3EESA_SA_SA_SA_
; %bb.0:
	s_load_dword s0, s[4:5], 0xd4
	s_load_dwordx8 s[24:31], s[4:5], 0x0
	v_mov_b32_e32 v1, 0
	v_mov_b32_e32 v2, s6
	s_waitcnt lgkmcnt(0)
	s_and_b32 s0, s0, 0xffff
	v_mad_u64_u32 v[2:3], s[0:1], s0, v2, v[0:1]
	v_cmp_gt_i64_e32 vcc, s[30:31], v[2:3]
	s_and_saveexec_b64 s[0:1], vcc
	s_cbranch_execz .LBB11_6
; %bb.1:
	s_load_dwordx8 s[36:43], s[4:5], 0x88
	s_load_dwordx16 s[8:23], s[4:5], 0x40
	s_load_dword s30, s[4:5], 0xc0
	s_load_dwordx2 s[6:7], s[4:5], 0xb8
	s_load_dwordx4 s[0:3], s[4:5], 0xa8
	s_waitcnt lgkmcnt(0)
	v_mul_hi_u32 v0, v2, s36
	v_add_u32_e32 v0, v0, v2
	v_lshrrev_b32_e32 v3, s37, v0
	v_mul_lo_u32 v0, v3, s38
	v_sub_u32_e32 v0, v2, v0
	v_mul_hi_u32 v2, v3, s39
	v_add_u32_e32 v2, v3, v2
	v_lshrrev_b32_e32 v4, s40, v2
	v_mul_lo_u32 v2, v4, s41
	v_sub_u32_e32 v9, v3, v2
	;; [unrolled: 5-line block ×5, first 2 shown]
	v_mad_u64_u32 v[4:5], s[0:1], v9, s14, 0
	v_mov_b32_e32 v6, v5
	v_mad_u64_u32 v[6:7], s[0:1], v9, s15, v[6:7]
	v_mov_b32_e32 v5, v6
	v_lshlrev_b64 v[4:5], 2, v[4:5]
	v_mov_b32_e32 v6, s27
	v_add_co_u32_e32 v11, vcc, s26, v4
	v_addc_co_u32_e32 v12, vcc, v6, v5, vcc
	v_mad_u64_u32 v[4:5], s[0:1], v10, s16, 0
	v_mov_b32_e32 v6, v5
	v_mad_u64_u32 v[6:7], s[0:1], v10, s17, v[6:7]
	v_mov_b32_e32 v5, v6
	v_lshlrev_b64 v[4:5], 2, v[4:5]
	v_add_co_u32_e32 v10, vcc, v11, v4
	v_addc_co_u32_e32 v11, vcc, v12, v5, vcc
	v_mad_u64_u32 v[4:5], s[0:1], v8, s18, 0
	v_mov_b32_e32 v6, v5
	v_mad_u64_u32 v[6:7], s[0:1], v8, s19, v[6:7]
	v_mov_b32_e32 v5, v6
	;; [unrolled: 2-line block ×4, first 2 shown]
	v_lshlrev_b64 v[6:7], 2, v[6:7]
	v_mov_b32_e32 v8, s25
	v_add_co_u32_e32 v12, vcc, s24, v6
	v_addc_co_u32_e32 v13, vcc, v8, v7, vcc
	v_mad_u64_u32 v[6:7], s[0:1], v3, s10, 0
	v_mov_b32_e32 v8, v7
	v_mad_u64_u32 v[8:9], s[0:1], v3, s11, v[8:9]
	v_mov_b32_e32 v7, v8
	v_lshlrev_b64 v[6:7], 2, v[6:7]
	v_add_co_u32_e32 v12, vcc, v12, v6
	v_addc_co_u32_e32 v13, vcc, v13, v7, vcc
	v_mad_u64_u32 v[6:7], s[0:1], v2, s12, 0
	v_mov_b32_e32 v8, v7
	v_mad_u64_u32 v[8:9], s[0:1], v2, s13, v[8:9]
	v_mov_b32_e32 v7, v8
	v_lshlrev_b64 v[6:7], 2, v[6:7]
	v_add_co_u32_e32 v8, vcc, v12, v6
	v_addc_co_u32_e32 v9, vcc, v13, v7, vcc
	v_lshlrev_b64 v[6:7], 2, v[0:1]
	v_add_co_u32_e32 v6, vcc, v8, v6
	v_lshlrev_b64 v[4:5], 2, v[4:5]
	v_addc_co_u32_e32 v7, vcc, v9, v7, vcc
	global_load_dword v6, v[6:7], off
	v_add_co_u32_e32 v4, vcc, v10, v4
	v_addc_co_u32_e32 v5, vcc, v11, v5, vcc
	global_load_dword v5, v[4:5], off
	s_mov_b32 s0, 0x7f800000
	s_waitcnt vmcnt(1)
	v_and_b32_e32 v4, 0x7f800000, v6
	v_cmp_ne_u32_e32 vcc, s0, v4
                                        ; implicit-def: $vgpr4
	s_and_saveexec_b64 s[0:1], vcc
	s_xor_b64 s[0:1], exec, s[0:1]
; %bb.2:
	v_bfe_u32 v4, v6, 16, 1
	s_movk_i32 s2, 0x7fff
	v_add3_u32 v4, v6, v4, s2
                                        ; implicit-def: $vgpr6
; %bb.3:
	s_andn2_saveexec_b64 s[0:1], s[0:1]
; %bb.4:
	v_mov_b32_e32 v4, 0
	v_or_b32_e32 v7, 0x10000, v6
	v_cmp_eq_u32_sdwa vcc, v6, v4 src0_sel:WORD_0 src1_sel:DWORD
	v_cndmask_b32_e32 v4, v7, v6, vcc
; %bb.5:
	s_or_b64 exec, exec, s[0:1]
	s_waitcnt vmcnt(0)
	v_ashrrev_i32_e32 v6, 31, v5
	v_mul_lo_u32 v8, v5, s21
	v_mul_lo_u32 v9, v6, s20
	v_mad_u64_u32 v[6:7], s[2:3], v5, s20, 0
	v_add3_u32 v7, v7, v8, v9
	v_lshlrev_b64 v[6:7], 1, v[6:7]
	v_mov_b32_e32 v5, s29
	v_add_co_u32_e32 v10, vcc, s28, v6
	v_addc_co_u32_e32 v5, vcc, v5, v7, vcc
	v_mad_u64_u32 v[6:7], s[2:3], v3, s22, 0
	s_load_dwordx2 s[0:1], s[4:5], 0x80
	v_mov_b32_e32 v8, v7
	v_mad_u64_u32 v[8:9], s[2:3], v3, s23, v[8:9]
	v_mov_b32_e32 v7, v8
	v_lshlrev_b64 v[6:7], 1, v[6:7]
	v_add_co_u32_e32 v9, vcc, v10, v6
	v_addc_co_u32_e32 v5, vcc, v5, v7, vcc
	s_waitcnt lgkmcnt(0)
	v_mad_u64_u32 v[6:7], s[2:3], v2, s0, 0
	v_mov_b32_e32 v8, v7
	v_mad_u64_u32 v[2:3], s[0:1], v2, s1, v[8:9]
	v_mov_b32_e32 v7, v2
	v_lshlrev_b64 v[2:3], 1, v[6:7]
	v_add_co_u32_e32 v2, vcc, v9, v2
	v_addc_co_u32_e32 v3, vcc, v5, v3, vcc
	v_lshlrev_b64 v[0:1], 1, v[0:1]
	v_add_co_u32_e32 v0, vcc, v2, v0
	v_addc_co_u32_e32 v1, vcc, v3, v1, vcc
	global_store_short_d16_hi v[0:1], v4, off
.LBB11_6:
	s_endpgm
	.section	.rodata,"a",@progbits
	.p2align	6, 0x0
	.amdhsa_kernel _ZL10k_set_rowsIfi14__hip_bfloat16EvPKT_PKT0_PT1_llllllllllllll15HIP_vector_typeIjLj3EESA_SA_SA_SA_
		.amdhsa_group_segment_fixed_size 0
		.amdhsa_private_segment_fixed_size 0
		.amdhsa_kernarg_size 456
		.amdhsa_user_sgpr_count 6
		.amdhsa_user_sgpr_private_segment_buffer 1
		.amdhsa_user_sgpr_dispatch_ptr 0
		.amdhsa_user_sgpr_queue_ptr 0
		.amdhsa_user_sgpr_kernarg_segment_ptr 1
		.amdhsa_user_sgpr_dispatch_id 0
		.amdhsa_user_sgpr_flat_scratch_init 0
		.amdhsa_user_sgpr_kernarg_preload_length 0
		.amdhsa_user_sgpr_kernarg_preload_offset 0
		.amdhsa_user_sgpr_private_segment_size 0
		.amdhsa_uses_dynamic_stack 0
		.amdhsa_system_sgpr_private_segment_wavefront_offset 0
		.amdhsa_system_sgpr_workgroup_id_x 1
		.amdhsa_system_sgpr_workgroup_id_y 0
		.amdhsa_system_sgpr_workgroup_id_z 0
		.amdhsa_system_sgpr_workgroup_info 0
		.amdhsa_system_vgpr_workitem_id 0
		.amdhsa_next_free_vgpr 14
		.amdhsa_next_free_sgpr 44
		.amdhsa_accum_offset 16
		.amdhsa_reserve_vcc 1
		.amdhsa_reserve_flat_scratch 0
		.amdhsa_float_round_mode_32 0
		.amdhsa_float_round_mode_16_64 0
		.amdhsa_float_denorm_mode_32 3
		.amdhsa_float_denorm_mode_16_64 3
		.amdhsa_dx10_clamp 1
		.amdhsa_ieee_mode 1
		.amdhsa_fp16_overflow 0
		.amdhsa_tg_split 0
		.amdhsa_exception_fp_ieee_invalid_op 0
		.amdhsa_exception_fp_denorm_src 0
		.amdhsa_exception_fp_ieee_div_zero 0
		.amdhsa_exception_fp_ieee_overflow 0
		.amdhsa_exception_fp_ieee_underflow 0
		.amdhsa_exception_fp_ieee_inexact 0
		.amdhsa_exception_int_div_zero 0
	.end_amdhsa_kernel
	.section	.text._ZL10k_set_rowsIfi14__hip_bfloat16EvPKT_PKT0_PT1_llllllllllllll15HIP_vector_typeIjLj3EESA_SA_SA_SA_,"axG",@progbits,_ZL10k_set_rowsIfi14__hip_bfloat16EvPKT_PKT0_PT1_llllllllllllll15HIP_vector_typeIjLj3EESA_SA_SA_SA_,comdat
.Lfunc_end11:
	.size	_ZL10k_set_rowsIfi14__hip_bfloat16EvPKT_PKT0_PT1_llllllllllllll15HIP_vector_typeIjLj3EESA_SA_SA_SA_, .Lfunc_end11-_ZL10k_set_rowsIfi14__hip_bfloat16EvPKT_PKT0_PT1_llllllllllllll15HIP_vector_typeIjLj3EESA_SA_SA_SA_
                                        ; -- End function
	.section	.AMDGPU.csdata,"",@progbits
; Kernel info:
; codeLenInByte = 784
; NumSgprs: 48
; NumVgprs: 14
; NumAgprs: 0
; TotalNumVgprs: 14
; ScratchSize: 0
; MemoryBound: 0
; FloatMode: 240
; IeeeMode: 1
; LDSByteSize: 0 bytes/workgroup (compile time only)
; SGPRBlocks: 5
; VGPRBlocks: 1
; NumSGPRsForWavesPerEU: 48
; NumVGPRsForWavesPerEU: 14
; AccumOffset: 16
; Occupancy: 8
; WaveLimiterHint : 1
; COMPUTE_PGM_RSRC2:SCRATCH_EN: 0
; COMPUTE_PGM_RSRC2:USER_SGPR: 6
; COMPUTE_PGM_RSRC2:TRAP_HANDLER: 0
; COMPUTE_PGM_RSRC2:TGID_X_EN: 1
; COMPUTE_PGM_RSRC2:TGID_Y_EN: 0
; COMPUTE_PGM_RSRC2:TGID_Z_EN: 0
; COMPUTE_PGM_RSRC2:TIDIG_COMP_CNT: 0
; COMPUTE_PGM_RSRC3_GFX90A:ACCUM_OFFSET: 3
; COMPUTE_PGM_RSRC3_GFX90A:TG_SPLIT: 0
	.section	.text._ZL16k_set_rows_quantIi10block_q4_0Li32ETnPFvPKfPT0_EXadL_ZL23quantize_f32_q4_0_blockS2_PS0_EEEvS2_PKT_S4_llllllllllllll15HIP_vector_typeIjLj3EESC_SC_SC_SC_,"axG",@progbits,_ZL16k_set_rows_quantIi10block_q4_0Li32ETnPFvPKfPT0_EXadL_ZL23quantize_f32_q4_0_blockS2_PS0_EEEvS2_PKT_S4_llllllllllllll15HIP_vector_typeIjLj3EESC_SC_SC_SC_,comdat
	.globl	_ZL16k_set_rows_quantIi10block_q4_0Li32ETnPFvPKfPT0_EXadL_ZL23quantize_f32_q4_0_blockS2_PS0_EEEvS2_PKT_S4_llllllllllllll15HIP_vector_typeIjLj3EESC_SC_SC_SC_ ; -- Begin function _ZL16k_set_rows_quantIi10block_q4_0Li32ETnPFvPKfPT0_EXadL_ZL23quantize_f32_q4_0_blockS2_PS0_EEEvS2_PKT_S4_llllllllllllll15HIP_vector_typeIjLj3EESC_SC_SC_SC_
	.p2align	8
	.type	_ZL16k_set_rows_quantIi10block_q4_0Li32ETnPFvPKfPT0_EXadL_ZL23quantize_f32_q4_0_blockS2_PS0_EEEvS2_PKT_S4_llllllllllllll15HIP_vector_typeIjLj3EESC_SC_SC_SC_,@function
_ZL16k_set_rows_quantIi10block_q4_0Li32ETnPFvPKfPT0_EXadL_ZL23quantize_f32_q4_0_blockS2_PS0_EEEvS2_PKT_S4_llllllllllllll15HIP_vector_typeIjLj3EESC_SC_SC_SC_: ; @_ZL16k_set_rows_quantIi10block_q4_0Li32ETnPFvPKfPT0_EXadL_ZL23quantize_f32_q4_0_blockS2_PS0_EEEvS2_PKT_S4_llllllllllllll15HIP_vector_typeIjLj3EESC_SC_SC_SC_
; %bb.0:
	s_load_dword s2, s[4:5], 0xd4
	s_load_dwordx2 s[0:1], s[4:5], 0x18
	v_mov_b32_e32 v1, 0
	v_mov_b32_e32 v2, s6
	s_waitcnt lgkmcnt(0)
	s_and_b32 s2, s2, 0xffff
	v_mad_u64_u32 v[2:3], s[2:3], s2, v2, v[0:1]
	v_cmp_gt_i64_e32 vcc, s[0:1], v[2:3]
	s_and_saveexec_b64 s[0:1], vcc
	s_cbranch_execz .LBB12_2
; %bb.1:
	s_load_dwordx4 s[0:3], s[4:5], 0x0
	s_load_dwordx2 s[6:7], s[4:5], 0x10
	s_load_dwordx16 s[8:23], s[4:5], 0x40
	s_load_dwordx8 s[24:31], s[4:5], 0x88
	s_load_dword s33, s[4:5], 0xc0
	s_load_dwordx2 s[34:35], s[4:5], 0xb8
	s_load_dwordx4 s[36:39], s[4:5], 0xa8
	v_lshlrev_b32_e32 v6, 5, v2
	s_waitcnt lgkmcnt(0)
	v_mul_hi_u32 v0, s24, v6
	v_add_u32_e32 v0, v6, v0
	v_lshrrev_b32_e32 v7, s25, v0
	v_mul_hi_u32 v0, v7, s27
	v_add_u32_e32 v0, v7, v0
	v_lshrrev_b32_e32 v0, s28, v0
	v_mul_lo_u32 v2, v0, s29
	v_sub_u32_e32 v8, v7, v2
	v_mul_hi_u32 v2, v0, s30
	v_add_u32_e32 v2, v0, v2
	v_lshrrev_b32_e32 v11, s31, v2
	v_mul_lo_u32 v2, v11, s36
	v_sub_u32_e32 v12, v0, v2
	;; [unrolled: 5-line block ×3, first 2 shown]
	v_mul_hi_u32 v0, v12, s37
	v_add_u32_e32 v0, v12, v0
	v_lshrrev_b32_e32 v0, s38, v0
	v_mul_lo_u32 v0, v0, s39
	v_mad_u64_u32 v[2:3], s[24:25], v8, s14, 0
	v_sub_u32_e32 v10, v12, v0
	v_mov_b32_e32 v0, v3
	v_mad_u64_u32 v[4:5], s[14:15], v8, s15, v[0:1]
	v_mov_b32_e32 v3, v4
	v_lshlrev_b64 v[2:3], 2, v[2:3]
	v_mov_b32_e32 v0, s3
	v_add_co_u32_e32 v13, vcc, s2, v2
	v_addc_co_u32_e32 v14, vcc, v0, v3, vcc
	v_mad_u64_u32 v[2:3], s[2:3], v10, s16, 0
	v_mov_b32_e32 v0, v3
	v_mad_u64_u32 v[4:5], s[2:3], v10, s17, v[0:1]
	v_mov_b32_e32 v3, v4
	v_lshlrev_b64 v[2:3], 2, v[2:3]
	v_add_co_u32_e32 v10, vcc, v13, v2
	v_addc_co_u32_e32 v13, vcc, v14, v3, vcc
	v_mad_u64_u32 v[2:3], s[2:3], v9, s18, 0
	v_mov_b32_e32 v0, v3
	v_mad_u64_u32 v[4:5], s[2:3], v9, s19, v[0:1]
	v_mov_b32_e32 v3, v4
	v_lshlrev_b64 v[2:3], 2, v[2:3]
	v_add_co_u32_e32 v2, vcc, v10, v2
	v_addc_co_u32_e32 v3, vcc, v13, v3, vcc
	global_load_dword v13, v[2:3], off
	s_load_dwordx2 s[2:3], s[4:5], 0x80
	v_mad_u64_u32 v[2:3], s[4:5], v8, s8, 0
	v_mul_lo_u32 v0, v7, s26
	v_mov_b32_e32 v4, v3
	v_sub_u32_e32 v0, v6, v0
	v_mad_u64_u32 v[6:7], s[4:5], v11, s12, 0
	v_mad_u64_u32 v[4:5], s[4:5], v8, s9, v[4:5]
	v_mov_b32_e32 v8, v7
	v_mov_b32_e32 v3, v4
	v_mad_u64_u32 v[4:5], s[4:5], v12, s10, 0
	v_mad_u64_u32 v[8:9], s[4:5], v11, s13, v[8:9]
	v_lshlrev_b64 v[2:3], 2, v[2:3]
	v_mov_b32_e32 v14, s1
	v_mov_b32_e32 v10, v5
	;; [unrolled: 1-line block ×3, first 2 shown]
	v_add_co_u32_e32 v8, vcc, s0, v2
	v_addc_co_u32_e32 v9, vcc, v14, v3, vcc
	v_mad_u64_u32 v[2:3], s[0:1], v12, s11, v[10:11]
	v_mov_b32_e32 v5, v2
	v_lshlrev_b64 v[2:3], 2, v[4:5]
	v_add_co_u32_e32 v2, vcc, v8, v2
	v_lshlrev_b64 v[6:7], 2, v[6:7]
	v_addc_co_u32_e32 v3, vcc, v9, v3, vcc
	v_add_co_u32_e32 v6, vcc, v2, v6
	v_addc_co_u32_e32 v7, vcc, v3, v7, vcc
	s_waitcnt vmcnt(0)
	v_ashrrev_i32_e32 v4, 31, v13
	v_mul_lo_u32 v5, v13, s21
	v_mad_u64_u32 v[2:3], s[0:1], v13, s20, 0
	v_mul_lo_u32 v4, v4, s20
	v_add3_u32 v3, v3, v5, v4
	s_waitcnt lgkmcnt(0)
	v_mad_u64_u32 v[2:3], s[0:1], v11, s2, v[2:3]
	v_mov_b32_e32 v4, v3
	v_mad_u64_u32 v[4:5], s[0:1], v11, s3, v[4:5]
	v_mov_b32_e32 v3, v4
	;; [unrolled: 2-line block ×3, first 2 shown]
	v_mad_u64_u32 v[12:13], s[0:1], v12, s23, v[2:3]
	v_lshlrev_b64 v[2:3], 2, v[0:1]
	s_add_u32 s0, 0, 0x38e27e00
	v_add_co_u32_e32 v34, vcc, v6, v2
	s_addc_u32 s1, 0, 62
	v_addc_co_u32_e32 v35, vcc, v7, v3, vcc
	s_add_i32 s1, s1, 0xe38e350
	s_mul_hi_u32 s5, s0, 0xffffffee
	global_load_dwordx4 v[14:17], v[34:35], off offset:16
	global_load_dwordx4 v[22:25], v[34:35], off
	s_sub_i32 s5, s5, s0
	s_mul_i32 s8, s1, 0xffffffee
	s_mul_i32 s2, s0, 0xffffffee
	s_add_i32 s5, s5, s8
	s_mul_hi_u32 s3, s1, s2
	s_mul_i32 s4, s1, s2
	s_mul_i32 s9, s0, s5
	s_mul_hi_u32 s2, s0, s2
	s_mul_hi_u32 s8, s0, s5
	s_add_u32 s2, s2, s9
	s_addc_u32 s8, 0, s8
	s_add_u32 s2, s2, s4
	s_mul_hi_u32 s9, s1, s5
	s_addc_u32 s2, s8, s3
	s_addc_u32 s3, s9, 0
	s_mul_i32 s4, s1, s5
	s_add_u32 s2, s2, s4
	v_mov_b32_e32 v1, s2
	s_addc_u32 s3, 0, s3
	v_add_co_u32_e32 v1, vcc, s0, v1
	s_cmp_lg_u64 vcc, 0
	s_addc_u32 s2, s1, s3
	v_mad_u64_u32 v[2:3], s[0:1], v10, s2, 0
	v_mul_hi_u32 v4, v10, v1
	v_add_co_u32_e32 v11, vcc, v4, v2
	v_addc_co_u32_e32 v13, vcc, 0, v3, vcc
	global_load_dwordx4 v[2:5], v[34:35], off offset:48
	global_load_dwordx4 v[6:9], v[34:35], off offset:32
	v_mad_u64_u32 v[18:19], s[0:1], v12, v1, 0
	v_add_co_u32_e32 v1, vcc, v11, v18
	v_mad_u64_u32 v[20:21], s[0:1], v12, s2, 0
	v_addc_co_u32_e32 v1, vcc, v13, v19, vcc
	v_addc_co_u32_e32 v11, vcc, 0, v21, vcc
	global_load_dwordx4 v[26:29], v[34:35], off offset:80
	global_load_dwordx4 v[30:33], v[34:35], off offset:64
	v_add_co_u32_e32 v1, vcc, v1, v20
	v_mad_u64_u32 v[18:19], s[0:1], v1, 18, 0
	v_addc_co_u32_e32 v11, vcc, 0, v11, vcc
	v_mov_b32_e32 v20, v19
	v_mad_u64_u32 v[20:21], s[0:1], v11, 18, v[20:21]
	v_sub_co_u32_e32 v10, vcc, v10, v18
	v_subb_co_u32_e32 v12, vcc, v12, v20, vcc
	v_subrev_co_u32_e32 v13, vcc, 18, v10
	v_subbrev_co_u32_e32 v18, vcc, 0, v12, vcc
	v_cmp_lt_u32_e32 vcc, 17, v13
	v_cndmask_b32_e64 v13, 0, -1, vcc
	v_cmp_eq_u32_e32 vcc, 0, v18
	v_cndmask_b32_e32 v13, -1, v13, vcc
	v_add_co_u32_e32 v18, vcc, 2, v1
	v_addc_co_u32_e32 v19, vcc, 0, v11, vcc
	v_add_co_u32_e32 v20, vcc, 1, v1
	v_cmp_lt_u32_e64 s[0:1], 17, v10
	v_addc_co_u32_e32 v21, vcc, 0, v11, vcc
	v_cndmask_b32_e64 v10, 0, -1, s[0:1]
	v_cmp_eq_u32_e64 s[0:1], 0, v12
	v_cmp_ne_u32_e32 vcc, 0, v13
	v_cndmask_b32_e64 v10, -1, v10, s[0:1]
	v_cndmask_b32_e32 v13, v21, v19, vcc
	v_cmp_ne_u32_e64 s[0:1], 0, v10
	v_cndmask_b32_e64 v37, v11, v13, s[0:1]
	v_cndmask_b32_e32 v36, v20, v18, vcc
	global_load_dwordx4 v[10:13], v[34:35], off offset:112
	global_load_dwordx4 v[18:21], v[34:35], off offset:96
	v_cndmask_b32_e64 v1, v1, v36, s[0:1]
	v_mad_u64_u32 v[34:35], s[0:1], v1, 18, s[6:7]
	v_mov_b32_e32 v36, v35
	v_mad_u64_u32 v[36:37], s[0:1], v37, 18, v[36:37]
	s_waitcnt vmcnt(6)
	v_cmp_lg_f32_e32 vcc, 0, v22
	v_mov_b32_e32 v35, v36
	v_cndmask_b32_e64 v36, 0, |v22|, vcc
	v_cndmask_b32_e32 v1, 0, v22, vcc
	v_cmp_lt_f32_e64 vcc, v36, |v23|
	v_cndmask_b32_e64 v36, v36, |v23|, vcc
	v_cndmask_b32_e32 v1, v1, v23, vcc
	v_cmp_lt_f32_e64 vcc, v36, |v24|
	v_cndmask_b32_e64 v36, v36, |v24|, vcc
	v_cndmask_b32_e32 v1, v1, v24, vcc
	v_cmp_lt_f32_e64 vcc, v36, |v25|
	v_cndmask_b32_e64 v36, v36, |v25|, vcc
	v_cndmask_b32_e32 v1, v1, v25, vcc
	v_cmp_lt_f32_e64 vcc, v36, |v14|
	v_cndmask_b32_e64 v36, v36, |v14|, vcc
	v_cndmask_b32_e32 v1, v1, v14, vcc
	v_cmp_lt_f32_e64 vcc, v36, |v15|
	v_cndmask_b32_e64 v36, v36, |v15|, vcc
	v_cndmask_b32_e32 v1, v1, v15, vcc
	v_cmp_lt_f32_e64 vcc, v36, |v16|
	v_cndmask_b32_e64 v36, v36, |v16|, vcc
	v_cndmask_b32_e32 v1, v1, v16, vcc
	v_cmp_lt_f32_e64 vcc, v36, |v17|
	v_cndmask_b32_e64 v36, v36, |v17|, vcc
	v_cndmask_b32_e32 v1, v1, v17, vcc
	s_waitcnt vmcnt(4)
	v_cmp_lt_f32_e64 vcc, v36, |v6|
	v_cndmask_b32_e64 v36, v36, |v6|, vcc
	v_cndmask_b32_e32 v1, v1, v6, vcc
	v_cmp_lt_f32_e64 vcc, v36, |v7|
	v_cndmask_b32_e64 v36, v36, |v7|, vcc
	v_cndmask_b32_e32 v1, v1, v7, vcc
	v_cmp_lt_f32_e64 vcc, v36, |v8|
	v_cndmask_b32_e64 v36, v36, |v8|, vcc
	v_cndmask_b32_e32 v1, v1, v8, vcc
	v_cmp_lt_f32_e64 vcc, v36, |v9|
	v_cndmask_b32_e64 v36, v36, |v9|, vcc
	v_cndmask_b32_e32 v1, v1, v9, vcc
	v_cmp_lt_f32_e64 vcc, v36, |v2|
	v_cndmask_b32_e64 v36, v36, |v2|, vcc
	v_cndmask_b32_e32 v1, v1, v2, vcc
	v_cmp_lt_f32_e64 vcc, v36, |v3|
	v_cndmask_b32_e64 v36, v36, |v3|, vcc
	v_cndmask_b32_e32 v1, v1, v3, vcc
	v_cmp_lt_f32_e64 vcc, v36, |v4|
	v_cndmask_b32_e64 v36, v36, |v4|, vcc
	v_cndmask_b32_e32 v1, v1, v4, vcc
	v_cmp_lt_f32_e64 vcc, v36, |v5|
	v_cndmask_b32_e64 v36, v36, |v5|, vcc
	v_cndmask_b32_e32 v1, v1, v5, vcc
	s_waitcnt vmcnt(2)
	v_cmp_lt_f32_e64 vcc, v36, |v30|
	v_cndmask_b32_e64 v36, v36, |v30|, vcc
	v_cndmask_b32_e32 v1, v1, v30, vcc
	v_cmp_lt_f32_e64 vcc, v36, |v31|
	v_cndmask_b32_e64 v36, v36, |v31|, vcc
	v_cndmask_b32_e32 v1, v1, v31, vcc
	v_cmp_lt_f32_e64 vcc, v36, |v32|
	v_cndmask_b32_e64 v36, v36, |v32|, vcc
	v_cndmask_b32_e32 v1, v1, v32, vcc
	v_cmp_lt_f32_e64 vcc, v36, |v33|
	v_cndmask_b32_e64 v36, v36, |v33|, vcc
	v_cndmask_b32_e32 v1, v1, v33, vcc
	v_cmp_lt_f32_e64 vcc, v36, |v26|
	v_cndmask_b32_e64 v36, v36, |v26|, vcc
	v_cndmask_b32_e32 v1, v1, v26, vcc
	v_cmp_lt_f32_e64 vcc, v36, |v27|
	v_cndmask_b32_e64 v36, v36, |v27|, vcc
	v_cndmask_b32_e32 v1, v1, v27, vcc
	v_cmp_lt_f32_e64 vcc, v36, |v28|
	v_cndmask_b32_e64 v36, v36, |v28|, vcc
	v_cndmask_b32_e32 v1, v1, v28, vcc
	v_cmp_lt_f32_e64 vcc, v36, |v29|
	v_cndmask_b32_e64 v36, v36, |v29|, vcc
	v_cndmask_b32_e32 v1, v1, v29, vcc
	s_waitcnt vmcnt(0)
	v_cmp_lt_f32_e64 vcc, v36, |v18|
	v_cndmask_b32_e64 v36, v36, |v18|, vcc
	v_cndmask_b32_e32 v1, v1, v18, vcc
	v_cmp_lt_f32_e64 vcc, v36, |v19|
	v_cndmask_b32_e64 v36, v36, |v19|, vcc
	v_cndmask_b32_e32 v1, v1, v19, vcc
	v_cmp_lt_f32_e64 vcc, v36, |v20|
	;; [unrolled: 3-line block ×7, first 2 shown]
	v_cndmask_b32_e32 v36, v1, v13, vcc
	v_mul_f32_e32 v37, 0xbe000000, v36
	v_div_scale_f32 v38, s[0:1], v37, v37, 1.0
	v_rcp_f32_e32 v39, v38
	v_lshrrev_b32_e32 v0, 5, v0
	v_mad_u64_u32 v[0:1], s[0:1], v0, 18, v[34:35]
	v_fma_f32 v34, -v38, v39, 1.0
	v_fmac_f32_e32 v39, v34, v39
	v_div_scale_f32 v34, vcc, 1.0, v37, 1.0
	v_mul_f32_e32 v35, v34, v39
	v_fma_f32 v40, -v38, v35, v34
	v_fmac_f32_e32 v35, v40, v39
	v_fma_f32 v34, -v38, v35, v34
	v_div_fmas_f32 v34, v34, v39, v35
	v_div_fixup_f32 v34, v34, v37, 1.0
	v_cmp_neq_f32_e32 vcc, 0, v37
	v_cndmask_b32_e32 v37, 0, v34, vcc
	v_mov_b32_e32 v38, 0x41080000
	v_fma_f32 v22, v22, v37, v38
	v_cvt_i32_f32_e32 v22, v22
	s_mov_b32 s0, 0xbe000000
	v_fma_mixlo_f16 v34, v36, s0, 0
	global_store_short v[0:1], v34, off
	v_cvt_f64_i32_e32 v[34:35], v22
	v_fma_f32 v22, v30, v37, v38
	v_cvt_i32_f32_e32 v22, v22
	s_mov_b32 s0, 0
	s_mov_b32 s1, 0x402e0000
	v_min_f64 v[34:35], v[34:35], s[0:1]
	v_cvt_i32_f64_e32 v30, v[34:35]
	v_cvt_f64_i32_e32 v[34:35], v22
	v_min_f64 v[34:35], v[34:35], s[0:1]
	v_cvt_i32_f64_e32 v22, v[34:35]
	v_fma_f32 v23, v23, v37, v38
	v_lshlrev_b16_e32 v22, 4, v22
	v_cvt_i32_f32_e32 v23, v23
	v_or_b32_e32 v30, v22, v30
	v_fma_f32 v22, v31, v37, v38
	v_cvt_i32_f32_e32 v31, v22
	v_cvt_f64_i32_e32 v[22:23], v23
	v_min_f64 v[22:23], v[22:23], s[0:1]
	v_cvt_i32_f64_e32 v34, v[22:23]
	v_cvt_f64_i32_e32 v[22:23], v31
	v_fma_f32 v24, v24, v37, v38
	v_min_f64 v[22:23], v[22:23], s[0:1]
	v_cvt_i32_f32_e32 v24, v24
	v_cvt_i32_f64_e32 v31, v[22:23]
	v_fma_f32 v22, v32, v37, v38
	v_cvt_i32_f32_e32 v32, v22
	v_cvt_f64_i32_e32 v[22:23], v24
	v_min_f64 v[22:23], v[22:23], s[0:1]
	v_cvt_i32_f64_e32 v24, v[22:23]
	v_cvt_f64_i32_e32 v[22:23], v32
	v_min_f64 v[22:23], v[22:23], s[0:1]
	v_cvt_i32_f64_e32 v22, v[22:23]
	v_fma_f32 v23, v25, v37, v38
	v_lshlrev_b16_e32 v22, 4, v22
	v_cvt_i32_f32_e32 v23, v23
	v_or_b32_e32 v24, v22, v24
	v_fma_f32 v22, v33, v37, v38
	v_cvt_i32_f32_e32 v25, v22
	v_cvt_f64_i32_e32 v[22:23], v23
	v_min_f64 v[22:23], v[22:23], s[0:1]
	v_cvt_i32_f64_e32 v32, v[22:23]
	v_cvt_f64_i32_e32 v[22:23], v25
	v_fma_f32 v14, v14, v37, v38
	v_min_f64 v[22:23], v[22:23], s[0:1]
	v_cvt_i32_f32_e32 v14, v14
	v_cvt_i32_f64_e32 v25, v[22:23]
	v_fma_f32 v22, v26, v37, v38
	v_cvt_i32_f32_e32 v26, v22
	v_cvt_f64_i32_e32 v[22:23], v14
	;; [unrolled: 22-line block ×7, first 2 shown]
	v_min_f64 v[2:3], v[2:3], s[0:1]
	v_cvt_i32_f64_e32 v4, v[2:3]
	v_cvt_f64_i32_e32 v[2:3], v11
	v_min_f64 v[2:3], v[2:3], s[0:1]
	v_cvt_i32_f64_e32 v2, v[2:3]
	v_fma_f32 v3, v5, v37, v38
	v_cvt_i32_f32_e32 v3, v3
	v_fmac_f32_e32 v38, v13, v37
	v_cvt_i32_f32_e32 v5, v38
	v_lshlrev_b16_e32 v2, 4, v2
	v_or_b32_e32 v4, v2, v4
	v_cvt_f64_i32_e32 v[2:3], v3
	v_min_f64 v[2:3], v[2:3], s[0:1]
	v_cvt_i32_f64_e32 v11, v[2:3]
	v_cvt_f64_i32_e32 v[2:3], v5
	v_min_f64 v[2:3], v[2:3], s[0:1]
	v_cvt_i32_f64_e32 v2, v[2:3]
	v_lshlrev_b16_e32 v3, 8, v10
	v_lshlrev_b16_e32 v5, 12, v7
	v_or_b32_e32 v3, v5, v3
	v_lshlrev_b16_e32 v5, 8, v11
	v_lshlrev_b16_e32 v2, 12, v2
	v_or_b32_e32 v2, v2, v5
	v_or_b32_sdwa v3, v6, v3 dst_sel:DWORD dst_unused:UNUSED_PAD src0_sel:BYTE_0 src1_sel:DWORD
	v_or_b32_sdwa v2, v4, v2 dst_sel:WORD_1 dst_unused:UNUSED_PAD src0_sel:BYTE_0 src1_sel:DWORD
	v_or_b32_sdwa v5, v3, v2 dst_sel:DWORD dst_unused:UNUSED_PAD src0_sel:WORD_0 src1_sel:DWORD
	v_lshlrev_b16_e32 v2, 8, v18
	v_lshlrev_b16_e32 v3, 12, v15
	v_or_b32_e32 v2, v3, v2
	v_lshlrev_b16_e32 v3, 8, v19
	v_lshlrev_b16_e32 v4, 12, v9
	v_or_b32_e32 v3, v4, v3
	v_or_b32_sdwa v2, v14, v2 dst_sel:DWORD dst_unused:UNUSED_PAD src0_sel:BYTE_0 src1_sel:DWORD
	v_or_b32_sdwa v3, v8, v3 dst_sel:WORD_1 dst_unused:UNUSED_PAD src0_sel:BYTE_0 src1_sel:DWORD
	v_or_b32_sdwa v4, v2, v3 dst_sel:DWORD dst_unused:UNUSED_PAD src0_sel:WORD_0 src1_sel:DWORD
	;; [unrolled: 9-line block ×4, first 2 shown]
	global_store_dwordx4 v[0:1], v[2:5], off offset:2
.LBB12_2:
	s_endpgm
	.section	.rodata,"a",@progbits
	.p2align	6, 0x0
	.amdhsa_kernel _ZL16k_set_rows_quantIi10block_q4_0Li32ETnPFvPKfPT0_EXadL_ZL23quantize_f32_q4_0_blockS2_PS0_EEEvS2_PKT_S4_llllllllllllll15HIP_vector_typeIjLj3EESC_SC_SC_SC_
		.amdhsa_group_segment_fixed_size 0
		.amdhsa_private_segment_fixed_size 0
		.amdhsa_kernarg_size 456
		.amdhsa_user_sgpr_count 6
		.amdhsa_user_sgpr_private_segment_buffer 1
		.amdhsa_user_sgpr_dispatch_ptr 0
		.amdhsa_user_sgpr_queue_ptr 0
		.amdhsa_user_sgpr_kernarg_segment_ptr 1
		.amdhsa_user_sgpr_dispatch_id 0
		.amdhsa_user_sgpr_flat_scratch_init 0
		.amdhsa_user_sgpr_kernarg_preload_length 0
		.amdhsa_user_sgpr_kernarg_preload_offset 0
		.amdhsa_user_sgpr_private_segment_size 0
		.amdhsa_uses_dynamic_stack 0
		.amdhsa_system_sgpr_private_segment_wavefront_offset 0
		.amdhsa_system_sgpr_workgroup_id_x 1
		.amdhsa_system_sgpr_workgroup_id_y 0
		.amdhsa_system_sgpr_workgroup_id_z 0
		.amdhsa_system_sgpr_workgroup_info 0
		.amdhsa_system_vgpr_workitem_id 0
		.amdhsa_next_free_vgpr 41
		.amdhsa_next_free_sgpr 40
		.amdhsa_accum_offset 44
		.amdhsa_reserve_vcc 1
		.amdhsa_reserve_flat_scratch 0
		.amdhsa_float_round_mode_32 0
		.amdhsa_float_round_mode_16_64 0
		.amdhsa_float_denorm_mode_32 3
		.amdhsa_float_denorm_mode_16_64 3
		.amdhsa_dx10_clamp 1
		.amdhsa_ieee_mode 1
		.amdhsa_fp16_overflow 0
		.amdhsa_tg_split 0
		.amdhsa_exception_fp_ieee_invalid_op 0
		.amdhsa_exception_fp_denorm_src 0
		.amdhsa_exception_fp_ieee_div_zero 0
		.amdhsa_exception_fp_ieee_overflow 0
		.amdhsa_exception_fp_ieee_underflow 0
		.amdhsa_exception_fp_ieee_inexact 0
		.amdhsa_exception_int_div_zero 0
	.end_amdhsa_kernel
	.section	.text._ZL16k_set_rows_quantIi10block_q4_0Li32ETnPFvPKfPT0_EXadL_ZL23quantize_f32_q4_0_blockS2_PS0_EEEvS2_PKT_S4_llllllllllllll15HIP_vector_typeIjLj3EESC_SC_SC_SC_,"axG",@progbits,_ZL16k_set_rows_quantIi10block_q4_0Li32ETnPFvPKfPT0_EXadL_ZL23quantize_f32_q4_0_blockS2_PS0_EEEvS2_PKT_S4_llllllllllllll15HIP_vector_typeIjLj3EESC_SC_SC_SC_,comdat
.Lfunc_end12:
	.size	_ZL16k_set_rows_quantIi10block_q4_0Li32ETnPFvPKfPT0_EXadL_ZL23quantize_f32_q4_0_blockS2_PS0_EEEvS2_PKT_S4_llllllllllllll15HIP_vector_typeIjLj3EESC_SC_SC_SC_, .Lfunc_end12-_ZL16k_set_rows_quantIi10block_q4_0Li32ETnPFvPKfPT0_EXadL_ZL23quantize_f32_q4_0_blockS2_PS0_EEEvS2_PKT_S4_llllllllllllll15HIP_vector_typeIjLj3EESC_SC_SC_SC_
                                        ; -- End function
	.section	.AMDGPU.csdata,"",@progbits
; Kernel info:
; codeLenInByte = 2988
; NumSgprs: 44
; NumVgprs: 41
; NumAgprs: 0
; TotalNumVgprs: 41
; ScratchSize: 0
; MemoryBound: 0
; FloatMode: 240
; IeeeMode: 1
; LDSByteSize: 0 bytes/workgroup (compile time only)
; SGPRBlocks: 5
; VGPRBlocks: 5
; NumSGPRsForWavesPerEU: 44
; NumVGPRsForWavesPerEU: 41
; AccumOffset: 44
; Occupancy: 8
; WaveLimiterHint : 1
; COMPUTE_PGM_RSRC2:SCRATCH_EN: 0
; COMPUTE_PGM_RSRC2:USER_SGPR: 6
; COMPUTE_PGM_RSRC2:TRAP_HANDLER: 0
; COMPUTE_PGM_RSRC2:TGID_X_EN: 1
; COMPUTE_PGM_RSRC2:TGID_Y_EN: 0
; COMPUTE_PGM_RSRC2:TGID_Z_EN: 0
; COMPUTE_PGM_RSRC2:TIDIG_COMP_CNT: 0
; COMPUTE_PGM_RSRC3_GFX90A:ACCUM_OFFSET: 10
; COMPUTE_PGM_RSRC3_GFX90A:TG_SPLIT: 0
	.section	.text._ZL16k_set_rows_quantIi10block_q4_1Li32ETnPFvPKfPT0_EXadL_ZL23quantize_f32_q4_1_blockS2_PS0_EEEvS2_PKT_S4_llllllllllllll15HIP_vector_typeIjLj3EESC_SC_SC_SC_,"axG",@progbits,_ZL16k_set_rows_quantIi10block_q4_1Li32ETnPFvPKfPT0_EXadL_ZL23quantize_f32_q4_1_blockS2_PS0_EEEvS2_PKT_S4_llllllllllllll15HIP_vector_typeIjLj3EESC_SC_SC_SC_,comdat
	.globl	_ZL16k_set_rows_quantIi10block_q4_1Li32ETnPFvPKfPT0_EXadL_ZL23quantize_f32_q4_1_blockS2_PS0_EEEvS2_PKT_S4_llllllllllllll15HIP_vector_typeIjLj3EESC_SC_SC_SC_ ; -- Begin function _ZL16k_set_rows_quantIi10block_q4_1Li32ETnPFvPKfPT0_EXadL_ZL23quantize_f32_q4_1_blockS2_PS0_EEEvS2_PKT_S4_llllllllllllll15HIP_vector_typeIjLj3EESC_SC_SC_SC_
	.p2align	8
	.type	_ZL16k_set_rows_quantIi10block_q4_1Li32ETnPFvPKfPT0_EXadL_ZL23quantize_f32_q4_1_blockS2_PS0_EEEvS2_PKT_S4_llllllllllllll15HIP_vector_typeIjLj3EESC_SC_SC_SC_,@function
_ZL16k_set_rows_quantIi10block_q4_1Li32ETnPFvPKfPT0_EXadL_ZL23quantize_f32_q4_1_blockS2_PS0_EEEvS2_PKT_S4_llllllllllllll15HIP_vector_typeIjLj3EESC_SC_SC_SC_: ; @_ZL16k_set_rows_quantIi10block_q4_1Li32ETnPFvPKfPT0_EXadL_ZL23quantize_f32_q4_1_blockS2_PS0_EEEvS2_PKT_S4_llllllllllllll15HIP_vector_typeIjLj3EESC_SC_SC_SC_
; %bb.0:
	s_load_dword s2, s[4:5], 0xd4
	s_load_dwordx2 s[0:1], s[4:5], 0x18
	v_mov_b32_e32 v1, 0
	v_mov_b32_e32 v2, s6
	s_waitcnt lgkmcnt(0)
	s_and_b32 s2, s2, 0xffff
	v_mad_u64_u32 v[2:3], s[2:3], s2, v2, v[0:1]
	v_cmp_gt_i64_e32 vcc, s[0:1], v[2:3]
	s_and_saveexec_b64 s[0:1], vcc
	s_cbranch_execz .LBB13_2
; %bb.1:
	s_load_dwordx4 s[0:3], s[4:5], 0x0
	s_load_dwordx2 s[6:7], s[4:5], 0x10
	s_load_dwordx16 s[8:23], s[4:5], 0x40
	s_load_dwordx8 s[24:31], s[4:5], 0x88
	s_load_dword s33, s[4:5], 0xc0
	s_load_dwordx2 s[34:35], s[4:5], 0xb8
	s_load_dwordx4 s[36:39], s[4:5], 0xa8
	v_lshlrev_b32_e32 v6, 5, v2
	s_waitcnt lgkmcnt(0)
	v_mul_hi_u32 v0, s24, v6
	v_add_u32_e32 v0, v6, v0
	v_lshrrev_b32_e32 v7, s25, v0
	v_mul_hi_u32 v0, v7, s27
	v_add_u32_e32 v0, v7, v0
	v_lshrrev_b32_e32 v0, s28, v0
	v_mul_lo_u32 v2, v0, s29
	v_sub_u32_e32 v8, v7, v2
	v_mul_hi_u32 v2, v0, s30
	v_add_u32_e32 v2, v0, v2
	v_lshrrev_b32_e32 v11, s31, v2
	v_mul_lo_u32 v2, v11, s36
	v_sub_u32_e32 v12, v0, v2
	;; [unrolled: 5-line block ×3, first 2 shown]
	v_mul_hi_u32 v0, v12, s37
	v_add_u32_e32 v0, v12, v0
	v_lshrrev_b32_e32 v0, s38, v0
	v_mul_lo_u32 v0, v0, s39
	v_mad_u64_u32 v[2:3], s[24:25], v8, s14, 0
	v_sub_u32_e32 v10, v12, v0
	v_mov_b32_e32 v0, v3
	v_mad_u64_u32 v[4:5], s[14:15], v8, s15, v[0:1]
	v_mov_b32_e32 v3, v4
	v_lshlrev_b64 v[2:3], 2, v[2:3]
	v_mov_b32_e32 v0, s3
	v_add_co_u32_e32 v13, vcc, s2, v2
	v_addc_co_u32_e32 v14, vcc, v0, v3, vcc
	v_mad_u64_u32 v[2:3], s[2:3], v10, s16, 0
	v_mov_b32_e32 v0, v3
	v_mad_u64_u32 v[4:5], s[2:3], v10, s17, v[0:1]
	v_mov_b32_e32 v3, v4
	v_lshlrev_b64 v[2:3], 2, v[2:3]
	v_add_co_u32_e32 v10, vcc, v13, v2
	v_addc_co_u32_e32 v13, vcc, v14, v3, vcc
	v_mad_u64_u32 v[2:3], s[2:3], v9, s18, 0
	v_mov_b32_e32 v0, v3
	v_mad_u64_u32 v[4:5], s[2:3], v9, s19, v[0:1]
	v_mov_b32_e32 v3, v4
	v_lshlrev_b64 v[2:3], 2, v[2:3]
	v_add_co_u32_e32 v2, vcc, v10, v2
	v_addc_co_u32_e32 v3, vcc, v13, v3, vcc
	global_load_dword v13, v[2:3], off
	s_load_dwordx2 s[2:3], s[4:5], 0x80
	v_mad_u64_u32 v[2:3], s[4:5], v8, s8, 0
	v_mul_lo_u32 v0, v7, s26
	v_mov_b32_e32 v4, v3
	v_sub_u32_e32 v0, v6, v0
	v_mad_u64_u32 v[6:7], s[4:5], v11, s12, 0
	v_mad_u64_u32 v[4:5], s[4:5], v8, s9, v[4:5]
	v_mov_b32_e32 v8, v7
	v_mov_b32_e32 v3, v4
	v_mad_u64_u32 v[4:5], s[4:5], v12, s10, 0
	v_mad_u64_u32 v[8:9], s[4:5], v11, s13, v[8:9]
	v_lshlrev_b64 v[2:3], 2, v[2:3]
	v_mov_b32_e32 v14, s1
	v_mov_b32_e32 v10, v5
	;; [unrolled: 1-line block ×3, first 2 shown]
	v_add_co_u32_e32 v8, vcc, s0, v2
	v_addc_co_u32_e32 v9, vcc, v14, v3, vcc
	v_mad_u64_u32 v[2:3], s[0:1], v12, s11, v[10:11]
	v_mov_b32_e32 v5, v2
	v_lshlrev_b64 v[2:3], 2, v[4:5]
	v_add_co_u32_e32 v2, vcc, v8, v2
	v_lshlrev_b64 v[6:7], 2, v[6:7]
	v_addc_co_u32_e32 v3, vcc, v9, v3, vcc
	v_add_co_u32_e32 v6, vcc, v2, v6
	v_addc_co_u32_e32 v7, vcc, v3, v7, vcc
	s_waitcnt vmcnt(0)
	v_ashrrev_i32_e32 v4, 31, v13
	v_mul_lo_u32 v5, v13, s21
	v_mad_u64_u32 v[2:3], s[0:1], v13, s20, 0
	v_mul_lo_u32 v4, v4, s20
	v_add3_u32 v3, v3, v5, v4
	s_waitcnt lgkmcnt(0)
	v_mad_u64_u32 v[2:3], s[0:1], v11, s2, v[2:3]
	v_mov_b32_e32 v4, v3
	v_mad_u64_u32 v[4:5], s[0:1], v11, s3, v[4:5]
	v_mov_b32_e32 v3, v4
	;; [unrolled: 2-line block ×3, first 2 shown]
	v_mad_u64_u32 v[12:13], s[0:1], v12, s23, v[2:3]
	v_lshlrev_b64 v[2:3], 2, v[0:1]
	v_add_co_u32_e32 v36, vcc, v6, v2
	v_addc_co_u32_e32 v37, vcc, v7, v3, vcc
	global_load_dwordx4 v[14:17], v[36:37], off offset:16
	global_load_dwordx4 v[22:25], v[36:37], off
	s_add_u32 s0, 0, 0xcccc3000
	s_addc_u32 s1, 0, 44
	s_add_i32 s1, s1, 0xccccca0
	s_mul_hi_u32 s5, s0, 0xffffffec
	s_sub_i32 s5, s5, s0
	s_mul_i32 s8, s1, 0xffffffec
	s_mul_i32 s2, s0, 0xffffffec
	s_add_i32 s5, s5, s8
	s_mul_hi_u32 s3, s1, s2
	s_mul_i32 s4, s1, s2
	s_mul_i32 s9, s0, s5
	s_mul_hi_u32 s2, s0, s2
	s_mul_hi_u32 s8, s0, s5
	s_add_u32 s2, s2, s9
	s_addc_u32 s8, 0, s8
	s_add_u32 s2, s2, s4
	s_mul_hi_u32 s9, s1, s5
	s_addc_u32 s2, s8, s3
	s_addc_u32 s3, s9, 0
	s_mul_i32 s4, s1, s5
	s_add_u32 s2, s2, s4
	v_mov_b32_e32 v1, s2
	s_addc_u32 s3, 0, s3
	v_add_co_u32_e32 v1, vcc, s0, v1
	s_cmp_lg_u64 vcc, 0
	s_addc_u32 s2, s1, s3
	v_mad_u64_u32 v[2:3], s[0:1], v10, s2, 0
	v_mul_hi_u32 v4, v10, v1
	v_add_co_u32_e32 v4, vcc, v4, v2
	v_addc_co_u32_e32 v5, vcc, 0, v3, vcc
	v_mad_u64_u32 v[2:3], s[0:1], v12, v1, 0
	v_add_co_u32_e32 v1, vcc, v4, v2
	v_addc_co_u32_e32 v1, vcc, v5, v3, vcc
	global_load_dwordx4 v[2:5], v[36:37], off offset:48
	global_load_dwordx4 v[6:9], v[36:37], off offset:32
	v_mad_u64_u32 v[18:19], s[0:1], v12, s2, 0
	v_addc_co_u32_e32 v11, vcc, 0, v19, vcc
	v_add_co_u32_e32 v1, vcc, v1, v18
	v_mad_u64_u32 v[18:19], s[0:1], v1, 20, 0
	v_addc_co_u32_e32 v11, vcc, 0, v11, vcc
	v_mov_b32_e32 v20, v19
	v_mad_u64_u32 v[20:21], s[0:1], v11, 20, v[20:21]
	v_sub_co_u32_e32 v10, vcc, v10, v18
	v_subb_co_u32_e32 v12, vcc, v12, v20, vcc
	v_subrev_co_u32_e32 v13, vcc, 20, v10
	v_subbrev_co_u32_e32 v18, vcc, 0, v12, vcc
	v_cmp_lt_u32_e32 vcc, 19, v13
	global_load_dwordx4 v[26:29], v[36:37], off offset:80
	global_load_dwordx4 v[30:33], v[36:37], off offset:64
	v_cndmask_b32_e64 v13, 0, -1, vcc
	v_cmp_eq_u32_e32 vcc, 0, v18
	v_cndmask_b32_e32 v13, -1, v13, vcc
	v_add_co_u32_e32 v18, vcc, 2, v1
	v_addc_co_u32_e32 v19, vcc, 0, v11, vcc
	v_add_co_u32_e32 v20, vcc, 1, v1
	v_cmp_lt_u32_e64 s[0:1], 19, v10
	v_addc_co_u32_e32 v21, vcc, 0, v11, vcc
	v_cndmask_b32_e64 v10, 0, -1, s[0:1]
	v_cmp_eq_u32_e64 s[0:1], 0, v12
	v_cmp_ne_u32_e32 vcc, 0, v13
	v_cndmask_b32_e64 v10, -1, v10, s[0:1]
	v_cmp_ne_u32_e64 s[0:1], 0, v10
	v_cndmask_b32_e32 v10, v20, v18, vcc
	v_cndmask_b32_e32 v13, v21, v19, vcc
	v_cndmask_b32_e64 v1, v1, v10, s[0:1]
	v_cndmask_b32_e64 v39, v11, v13, s[0:1]
	v_mad_u64_u32 v[34:35], s[0:1], v1, 20, s[6:7]
	s_waitcnt vmcnt(4)
	v_max_f32_e32 v1, v22, v22
	v_min_f32_e32 v10, 0x7f7fffff, v1
	v_max_f32_e32 v1, 0xff7fffff, v1
	v_cmp_lt_f32_e32 vcc, v23, v10
	v_cndmask_b32_e32 v10, v10, v23, vcc
	v_cmp_gt_f32_e32 vcc, v23, v1
	v_cndmask_b32_e32 v1, v1, v23, vcc
	v_cmp_lt_f32_e32 vcc, v24, v10
	v_cndmask_b32_e32 v10, v10, v24, vcc
	v_cmp_gt_f32_e32 vcc, v24, v1
	v_cndmask_b32_e32 v1, v1, v24, vcc
	v_cmp_lt_f32_e32 vcc, v25, v10
	v_mov_b32_e32 v38, v35
	v_cndmask_b32_e32 v35, v10, v25, vcc
	global_load_dwordx4 v[10:13], v[36:37], off offset:112
	global_load_dwordx4 v[18:21], v[36:37], off offset:96
	v_cmp_gt_f32_e32 vcc, v25, v1
	v_cndmask_b32_e32 v1, v1, v25, vcc
	v_cmp_lt_f32_e32 vcc, v14, v35
	v_cndmask_b32_e32 v35, v35, v14, vcc
	v_cmp_gt_f32_e32 vcc, v14, v1
	v_cndmask_b32_e32 v1, v1, v14, vcc
	v_cmp_lt_f32_e32 vcc, v15, v35
	v_cndmask_b32_e32 v35, v35, v15, vcc
	v_cmp_gt_f32_e32 vcc, v15, v1
	v_cndmask_b32_e32 v1, v1, v15, vcc
	v_cmp_lt_f32_e32 vcc, v16, v35
	v_cndmask_b32_e32 v35, v35, v16, vcc
	v_cmp_gt_f32_e32 vcc, v16, v1
	v_cndmask_b32_e32 v1, v1, v16, vcc
	v_cmp_lt_f32_e32 vcc, v17, v35
	v_cndmask_b32_e32 v35, v35, v17, vcc
	v_cmp_gt_f32_e32 vcc, v17, v1
	v_cndmask_b32_e32 v1, v1, v17, vcc
	s_waitcnt vmcnt(4)
	v_cmp_lt_f32_e32 vcc, v6, v35
	v_cndmask_b32_e32 v35, v35, v6, vcc
	v_cmp_gt_f32_e32 vcc, v6, v1
	v_cndmask_b32_e32 v1, v1, v6, vcc
	v_cmp_lt_f32_e32 vcc, v7, v35
	v_cndmask_b32_e32 v35, v35, v7, vcc
	v_cmp_gt_f32_e32 vcc, v7, v1
	v_cndmask_b32_e32 v1, v1, v7, vcc
	v_cmp_lt_f32_e32 vcc, v8, v35
	v_cndmask_b32_e32 v35, v35, v8, vcc
	v_cmp_gt_f32_e32 vcc, v8, v1
	v_cndmask_b32_e32 v1, v1, v8, vcc
	v_cmp_lt_f32_e32 vcc, v9, v35
	v_cndmask_b32_e32 v35, v35, v9, vcc
	v_cmp_gt_f32_e32 vcc, v9, v1
	v_cndmask_b32_e32 v1, v1, v9, vcc
	v_cmp_lt_f32_e32 vcc, v2, v35
	v_cndmask_b32_e32 v35, v35, v2, vcc
	v_cmp_gt_f32_e32 vcc, v2, v1
	v_cndmask_b32_e32 v1, v1, v2, vcc
	v_cmp_lt_f32_e32 vcc, v3, v35
	v_cndmask_b32_e32 v35, v35, v3, vcc
	v_cmp_gt_f32_e32 vcc, v3, v1
	v_cndmask_b32_e32 v1, v1, v3, vcc
	v_cmp_lt_f32_e32 vcc, v4, v35
	v_cndmask_b32_e32 v35, v35, v4, vcc
	v_cmp_gt_f32_e32 vcc, v4, v1
	v_cndmask_b32_e32 v1, v1, v4, vcc
	v_cmp_lt_f32_e32 vcc, v5, v35
	v_cndmask_b32_e32 v35, v35, v5, vcc
	v_cmp_gt_f32_e32 vcc, v5, v1
	v_cndmask_b32_e32 v1, v1, v5, vcc
	s_waitcnt vmcnt(2)
	v_cmp_lt_f32_e32 vcc, v30, v35
	v_cndmask_b32_e32 v35, v35, v30, vcc
	v_cmp_gt_f32_e32 vcc, v30, v1
	v_cndmask_b32_e32 v1, v1, v30, vcc
	v_cmp_lt_f32_e32 vcc, v31, v35
	v_cndmask_b32_e32 v35, v35, v31, vcc
	v_cmp_gt_f32_e32 vcc, v31, v1
	v_cndmask_b32_e32 v1, v1, v31, vcc
	v_cmp_lt_f32_e32 vcc, v32, v35
	v_cndmask_b32_e32 v35, v35, v32, vcc
	v_cmp_gt_f32_e32 vcc, v32, v1
	v_cndmask_b32_e32 v1, v1, v32, vcc
	v_cmp_lt_f32_e32 vcc, v33, v35
	v_cndmask_b32_e32 v35, v35, v33, vcc
	;; [unrolled: 33-line block ×3, first 2 shown]
	v_cmp_gt_f32_e32 vcc, v21, v1
	v_cndmask_b32_e32 v1, v1, v21, vcc
	v_cmp_lt_f32_e32 vcc, v10, v35
	v_cndmask_b32_e32 v35, v35, v10, vcc
	v_cmp_gt_f32_e32 vcc, v10, v1
	v_cndmask_b32_e32 v1, v1, v10, vcc
	v_cmp_lt_f32_e32 vcc, v11, v35
	v_cndmask_b32_e32 v35, v35, v11, vcc
	;; [unrolled: 4-line block ×4, first 2 shown]
	v_cmp_gt_f32_e32 vcc, v13, v1
	v_cndmask_b32_e32 v1, v1, v13, vcc
	v_sub_f32_e32 v1, v1, v36
	s_mov_b32 s2, 0x41700000
	v_div_scale_f32 v37, s[0:1], s2, s2, v1
	v_rcp_f32_e32 v40, v37
	v_mad_u64_u32 v[38:39], s[0:1], v39, 20, v[38:39]
	v_mov_b32_e32 v35, v38
	v_fma_f32 v38, -v37, v40, 1.0
	v_fmac_f32_e32 v40, v38, v40
	v_div_scale_f32 v38, vcc, v1, s2, v1
	v_mul_f32_e32 v39, v38, v40
	v_fma_f32 v41, -v37, v39, v38
	v_fmac_f32_e32 v39, v41, v40
	v_fma_f32 v37, -v37, v39, v38
	v_div_fmas_f32 v37, v37, v40, v39
	v_div_fixup_f32 v37, v37, s2, v1
	v_div_scale_f32 v38, s[0:1], v37, v37, 1.0
	v_rcp_f32_e32 v39, v38
	v_lshrrev_b32_e32 v0, 5, v0
	v_mad_u64_u32 v[0:1], s[0:1], v0, 20, v[34:35]
	v_fma_f32 v34, -v38, v39, 1.0
	v_fmac_f32_e32 v39, v34, v39
	v_div_scale_f32 v34, vcc, 1.0, v37, 1.0
	v_mul_f32_e32 v35, v34, v39
	v_fma_f32 v40, -v38, v35, v34
	v_fmac_f32_e32 v35, v40, v39
	v_fma_f32 v34, -v38, v35, v34
	v_div_fmas_f32 v34, v34, v39, v35
	v_div_fixup_f32 v34, v34, v37, 1.0
	v_cmp_neq_f32_e32 vcc, 0, v37
	v_cndmask_b32_e32 v34, 0, v34, vcc
	v_sub_f32_e32 v22, v22, v36
	v_fma_f32 v22, v22, v34, 0.5
	v_cvt_i32_f32_e32 v22, v22
	v_sub_f32_e32 v30, v30, v36
	s_mov_b32 s0, 0
	s_mov_b32 s1, 0x402e0000
	v_cvt_f64_i32_e32 v[38:39], v22
	v_fma_f32 v22, v30, v34, 0.5
	v_cvt_i32_f32_e32 v22, v22
	v_min_f64 v[38:39], v[38:39], s[0:1]
	v_cvt_i32_f64_e32 v30, v[38:39]
	v_cvt_f16_f32_e32 v35, v37
	v_cvt_f64_i32_e32 v[38:39], v22
	v_cvt_f16_f32_e32 v37, v36
	v_min_f64 v[38:39], v[38:39], s[0:1]
	v_cvt_i32_f64_e32 v22, v[38:39]
	v_sub_f32_e32 v23, v23, v36
	v_lshlrev_b16_e32 v22, 4, v22
	v_fma_f32 v23, v23, v34, 0.5
	v_or_b32_e32 v22, v22, v30
	v_cvt_i32_f32_e32 v23, v23
	v_sub_f32_e32 v30, v31, v36
	v_pack_b32_f16 v35, v35, v37
	v_fma_f32 v30, v30, v34, 0.5
	global_store_dword v[0:1], v35, off
	v_cvt_i32_f32_e32 v35, v30
	v_cvt_f64_i32_e32 v[30:31], v23
	v_min_f64 v[30:31], v[30:31], s[0:1]
	v_cvt_i32_f64_e32 v23, v[30:31]
	v_cvt_f64_i32_e32 v[30:31], v35
	v_sub_f32_e32 v24, v24, v36
	v_min_f64 v[30:31], v[30:31], s[0:1]
	v_fma_f32 v24, v24, v34, 0.5
	v_cvt_i32_f64_e32 v30, v[30:31]
	v_cvt_i32_f32_e32 v24, v24
	v_sub_f32_e32 v31, v32, v36
	v_fma_f32 v31, v31, v34, 0.5
	v_cvt_i32_f32_e32 v31, v31
	v_cvt_f64_i32_e32 v[38:39], v24
	v_min_f64 v[38:39], v[38:39], s[0:1]
	v_cvt_i32_f64_e32 v24, v[38:39]
	v_cvt_f64_i32_e32 v[38:39], v31
	v_min_f64 v[38:39], v[38:39], s[0:1]
	v_cvt_i32_f64_e32 v31, v[38:39]
	v_lshlrev_b16_e32 v31, 4, v31
	v_or_b32_e32 v31, v31, v24
	v_sub_f32_e32 v24, v25, v36
	v_fma_f32 v24, v24, v34, 0.5
	v_cvt_i32_f32_e32 v24, v24
	v_sub_f32_e32 v25, v33, v36
	v_fma_f32 v25, v25, v34, 0.5
	v_cvt_i32_f32_e32 v32, v25
	v_cvt_f64_i32_e32 v[24:25], v24
	v_min_f64 v[24:25], v[24:25], s[0:1]
	v_cvt_i32_f64_e32 v33, v[24:25]
	v_cvt_f64_i32_e32 v[24:25], v32
	v_sub_f32_e32 v14, v14, v36
	v_min_f64 v[24:25], v[24:25], s[0:1]
	v_fma_f32 v14, v14, v34, 0.5
	v_cvt_i32_f64_e32 v32, v[24:25]
	v_cvt_i32_f32_e32 v14, v14
	v_sub_f32_e32 v24, v26, v36
	v_fma_f32 v24, v24, v34, 0.5
	v_cvt_i32_f32_e32 v26, v24
	v_cvt_f64_i32_e32 v[24:25], v14
	v_min_f64 v[24:25], v[24:25], s[0:1]
	v_cvt_i32_f64_e32 v14, v[24:25]
	v_cvt_f64_i32_e32 v[24:25], v26
	v_min_f64 v[24:25], v[24:25], s[0:1]
	v_cvt_i32_f64_e32 v24, v[24:25]
	v_lshlrev_b16_e32 v24, 4, v24
	v_or_b32_e32 v24, v24, v14
	v_sub_f32_e32 v14, v15, v36
	v_fma_f32 v14, v14, v34, 0.5
	v_cvt_i32_f32_e32 v14, v14
	v_sub_f32_e32 v15, v27, v36
	v_fma_f32 v15, v15, v34, 0.5
	v_cvt_i32_f32_e32 v25, v15
	v_cvt_f64_i32_e32 v[14:15], v14
	v_min_f64 v[14:15], v[14:15], s[0:1]
	v_cvt_i32_f64_e32 v26, v[14:15]
	v_cvt_f64_i32_e32 v[14:15], v25
	v_min_f64 v[14:15], v[14:15], s[0:1]
	v_cvt_i32_f64_e32 v25, v[14:15]
	v_sub_f32_e32 v14, v16, v36
	v_fma_f32 v14, v14, v34, 0.5
	v_cvt_i32_f32_e32 v14, v14
	v_sub_f32_e32 v15, v28, v36
	v_fma_f32 v15, v15, v34, 0.5
	v_cvt_i32_f32_e32 v16, v15
	v_cvt_f64_i32_e32 v[14:15], v14
	v_min_f64 v[14:15], v[14:15], s[0:1]
	v_cvt_i32_f64_e32 v27, v[14:15]
	v_cvt_f64_i32_e32 v[14:15], v16
	v_min_f64 v[14:15], v[14:15], s[0:1]
	v_cvt_i32_f64_e32 v14, v[14:15]
	v_lshlrev_b16_e32 v14, 4, v14
	v_or_b32_e32 v16, v14, v27
	v_sub_f32_e32 v14, v17, v36
	v_fma_f32 v14, v14, v34, 0.5
	v_cvt_i32_f32_e32 v14, v14
	v_sub_f32_e32 v15, v29, v36
	v_fma_f32 v15, v15, v34, 0.5
	v_cvt_i32_f32_e32 v17, v15
	v_cvt_f64_i32_e32 v[14:15], v14
	v_min_f64 v[14:15], v[14:15], s[0:1]
	v_cvt_i32_f64_e32 v27, v[14:15]
	v_cvt_f64_i32_e32 v[14:15], v17
	v_sub_f32_e32 v6, v6, v36
	v_min_f64 v[14:15], v[14:15], s[0:1]
	v_fma_f32 v6, v6, v34, 0.5
	v_cvt_i32_f64_e32 v17, v[14:15]
	v_cvt_i32_f32_e32 v6, v6
	v_sub_f32_e32 v14, v18, v36
	v_fma_f32 v14, v14, v34, 0.5
	v_cvt_i32_f32_e32 v18, v14
	v_cvt_f64_i32_e32 v[14:15], v6
	v_min_f64 v[14:15], v[14:15], s[0:1]
	v_cvt_i32_f64_e32 v6, v[14:15]
	v_cvt_f64_i32_e32 v[14:15], v18
	v_min_f64 v[14:15], v[14:15], s[0:1]
	v_cvt_i32_f64_e32 v14, v[14:15]
	v_lshlrev_b16_e32 v14, 4, v14
	v_or_b32_e32 v14, v14, v6
	v_sub_f32_e32 v6, v7, v36
	v_fma_f32 v6, v6, v34, 0.5
	v_cvt_i32_f32_e32 v6, v6
	v_sub_f32_e32 v7, v19, v36
	v_fma_f32 v7, v7, v34, 0.5
	v_cvt_i32_f32_e32 v15, v7
	v_cvt_f64_i32_e32 v[6:7], v6
	v_min_f64 v[6:7], v[6:7], s[0:1]
	v_cvt_i32_f64_e32 v18, v[6:7]
	v_cvt_f64_i32_e32 v[6:7], v15
	v_min_f64 v[6:7], v[6:7], s[0:1]
	v_cvt_i32_f64_e32 v15, v[6:7]
	v_sub_f32_e32 v6, v8, v36
	v_fma_f32 v6, v6, v34, 0.5
	;; [unrolled: 52-line block ×3, first 2 shown]
	v_cvt_i32_f32_e32 v2, v2
	v_sub_f32_e32 v3, v12, v36
	v_fma_f32 v3, v3, v34, 0.5
	v_cvt_i32_f32_e32 v4, v3
	v_cvt_f64_i32_e32 v[2:3], v2
	v_min_f64 v[2:3], v[2:3], s[0:1]
	v_cvt_i32_f64_e32 v11, v[2:3]
	v_cvt_f64_i32_e32 v[2:3], v4
	v_min_f64 v[2:3], v[2:3], s[0:1]
	v_cvt_i32_f64_e32 v2, v[2:3]
	v_lshlrev_b16_e32 v2, 4, v2
	v_or_b32_e32 v4, v2, v11
	v_sub_f32_e32 v2, v5, v36
	v_fma_f32 v2, v2, v34, 0.5
	v_cvt_i32_f32_e32 v2, v2
	v_sub_f32_e32 v3, v13, v36
	v_fma_f32 v3, v3, v34, 0.5
	v_cvt_i32_f32_e32 v5, v3
	v_cvt_f64_i32_e32 v[2:3], v2
	v_min_f64 v[2:3], v[2:3], s[0:1]
	v_cvt_i32_f64_e32 v11, v[2:3]
	v_cvt_f64_i32_e32 v[2:3], v5
	v_min_f64 v[2:3], v[2:3], s[0:1]
	v_cvt_i32_f64_e32 v2, v[2:3]
	v_lshlrev_b16_e32 v3, 8, v10
	v_lshlrev_b16_e32 v5, 12, v7
	v_or_b32_e32 v3, v5, v3
	v_lshlrev_b16_e32 v5, 8, v11
	v_lshlrev_b16_e32 v2, 12, v2
	v_or_b32_e32 v2, v2, v5
	v_or_b32_sdwa v3, v6, v3 dst_sel:DWORD dst_unused:UNUSED_PAD src0_sel:BYTE_0 src1_sel:DWORD
	v_or_b32_sdwa v2, v4, v2 dst_sel:WORD_1 dst_unused:UNUSED_PAD src0_sel:BYTE_0 src1_sel:DWORD
	v_or_b32_sdwa v5, v3, v2 dst_sel:DWORD dst_unused:UNUSED_PAD src0_sel:WORD_0 src1_sel:DWORD
	v_lshlrev_b16_e32 v2, 8, v18
	v_lshlrev_b16_e32 v3, 12, v15
	v_or_b32_e32 v2, v3, v2
	v_lshlrev_b16_e32 v3, 8, v19
	v_lshlrev_b16_e32 v4, 12, v9
	v_or_b32_e32 v3, v4, v3
	v_or_b32_sdwa v2, v14, v2 dst_sel:DWORD dst_unused:UNUSED_PAD src0_sel:BYTE_0 src1_sel:DWORD
	v_or_b32_sdwa v3, v8, v3 dst_sel:WORD_1 dst_unused:UNUSED_PAD src0_sel:BYTE_0 src1_sel:DWORD
	v_or_b32_sdwa v4, v2, v3 dst_sel:DWORD dst_unused:UNUSED_PAD src0_sel:WORD_0 src1_sel:DWORD
	;; [unrolled: 9-line block ×4, first 2 shown]
	global_store_dwordx4 v[0:1], v[2:5], off offset:4
.LBB13_2:
	s_endpgm
	.section	.rodata,"a",@progbits
	.p2align	6, 0x0
	.amdhsa_kernel _ZL16k_set_rows_quantIi10block_q4_1Li32ETnPFvPKfPT0_EXadL_ZL23quantize_f32_q4_1_blockS2_PS0_EEEvS2_PKT_S4_llllllllllllll15HIP_vector_typeIjLj3EESC_SC_SC_SC_
		.amdhsa_group_segment_fixed_size 0
		.amdhsa_private_segment_fixed_size 0
		.amdhsa_kernarg_size 456
		.amdhsa_user_sgpr_count 6
		.amdhsa_user_sgpr_private_segment_buffer 1
		.amdhsa_user_sgpr_dispatch_ptr 0
		.amdhsa_user_sgpr_queue_ptr 0
		.amdhsa_user_sgpr_kernarg_segment_ptr 1
		.amdhsa_user_sgpr_dispatch_id 0
		.amdhsa_user_sgpr_flat_scratch_init 0
		.amdhsa_user_sgpr_kernarg_preload_length 0
		.amdhsa_user_sgpr_kernarg_preload_offset 0
		.amdhsa_user_sgpr_private_segment_size 0
		.amdhsa_uses_dynamic_stack 0
		.amdhsa_system_sgpr_private_segment_wavefront_offset 0
		.amdhsa_system_sgpr_workgroup_id_x 1
		.amdhsa_system_sgpr_workgroup_id_y 0
		.amdhsa_system_sgpr_workgroup_id_z 0
		.amdhsa_system_sgpr_workgroup_info 0
		.amdhsa_system_vgpr_workitem_id 0
		.amdhsa_next_free_vgpr 42
		.amdhsa_next_free_sgpr 40
		.amdhsa_accum_offset 44
		.amdhsa_reserve_vcc 1
		.amdhsa_reserve_flat_scratch 0
		.amdhsa_float_round_mode_32 0
		.amdhsa_float_round_mode_16_64 0
		.amdhsa_float_denorm_mode_32 3
		.amdhsa_float_denorm_mode_16_64 3
		.amdhsa_dx10_clamp 1
		.amdhsa_ieee_mode 1
		.amdhsa_fp16_overflow 0
		.amdhsa_tg_split 0
		.amdhsa_exception_fp_ieee_invalid_op 0
		.amdhsa_exception_fp_denorm_src 0
		.amdhsa_exception_fp_ieee_div_zero 0
		.amdhsa_exception_fp_ieee_overflow 0
		.amdhsa_exception_fp_ieee_underflow 0
		.amdhsa_exception_fp_ieee_inexact 0
		.amdhsa_exception_int_div_zero 0
	.end_amdhsa_kernel
	.section	.text._ZL16k_set_rows_quantIi10block_q4_1Li32ETnPFvPKfPT0_EXadL_ZL23quantize_f32_q4_1_blockS2_PS0_EEEvS2_PKT_S4_llllllllllllll15HIP_vector_typeIjLj3EESC_SC_SC_SC_,"axG",@progbits,_ZL16k_set_rows_quantIi10block_q4_1Li32ETnPFvPKfPT0_EXadL_ZL23quantize_f32_q4_1_blockS2_PS0_EEEvS2_PKT_S4_llllllllllllll15HIP_vector_typeIjLj3EESC_SC_SC_SC_,comdat
.Lfunc_end13:
	.size	_ZL16k_set_rows_quantIi10block_q4_1Li32ETnPFvPKfPT0_EXadL_ZL23quantize_f32_q4_1_blockS2_PS0_EEEvS2_PKT_S4_llllllllllllll15HIP_vector_typeIjLj3EESC_SC_SC_SC_, .Lfunc_end13-_ZL16k_set_rows_quantIi10block_q4_1Li32ETnPFvPKfPT0_EXadL_ZL23quantize_f32_q4_1_blockS2_PS0_EEEvS2_PKT_S4_llllllllllllll15HIP_vector_typeIjLj3EESC_SC_SC_SC_
                                        ; -- End function
	.section	.AMDGPU.csdata,"",@progbits
; Kernel info:
; codeLenInByte = 3076
; NumSgprs: 44
; NumVgprs: 42
; NumAgprs: 0
; TotalNumVgprs: 42
; ScratchSize: 0
; MemoryBound: 0
; FloatMode: 240
; IeeeMode: 1
; LDSByteSize: 0 bytes/workgroup (compile time only)
; SGPRBlocks: 5
; VGPRBlocks: 5
; NumSGPRsForWavesPerEU: 44
; NumVGPRsForWavesPerEU: 42
; AccumOffset: 44
; Occupancy: 8
; WaveLimiterHint : 1
; COMPUTE_PGM_RSRC2:SCRATCH_EN: 0
; COMPUTE_PGM_RSRC2:USER_SGPR: 6
; COMPUTE_PGM_RSRC2:TRAP_HANDLER: 0
; COMPUTE_PGM_RSRC2:TGID_X_EN: 1
; COMPUTE_PGM_RSRC2:TGID_Y_EN: 0
; COMPUTE_PGM_RSRC2:TGID_Z_EN: 0
; COMPUTE_PGM_RSRC2:TIDIG_COMP_CNT: 0
; COMPUTE_PGM_RSRC3_GFX90A:ACCUM_OFFSET: 10
; COMPUTE_PGM_RSRC3_GFX90A:TG_SPLIT: 0
	.section	.text._ZL16k_set_rows_quantIi10block_q5_0Li32ETnPFvPKfPT0_EXadL_ZL23quantize_f32_q5_0_blockS2_PS0_EEEvS2_PKT_S4_llllllllllllll15HIP_vector_typeIjLj3EESC_SC_SC_SC_,"axG",@progbits,_ZL16k_set_rows_quantIi10block_q5_0Li32ETnPFvPKfPT0_EXadL_ZL23quantize_f32_q5_0_blockS2_PS0_EEEvS2_PKT_S4_llllllllllllll15HIP_vector_typeIjLj3EESC_SC_SC_SC_,comdat
	.globl	_ZL16k_set_rows_quantIi10block_q5_0Li32ETnPFvPKfPT0_EXadL_ZL23quantize_f32_q5_0_blockS2_PS0_EEEvS2_PKT_S4_llllllllllllll15HIP_vector_typeIjLj3EESC_SC_SC_SC_ ; -- Begin function _ZL16k_set_rows_quantIi10block_q5_0Li32ETnPFvPKfPT0_EXadL_ZL23quantize_f32_q5_0_blockS2_PS0_EEEvS2_PKT_S4_llllllllllllll15HIP_vector_typeIjLj3EESC_SC_SC_SC_
	.p2align	8
	.type	_ZL16k_set_rows_quantIi10block_q5_0Li32ETnPFvPKfPT0_EXadL_ZL23quantize_f32_q5_0_blockS2_PS0_EEEvS2_PKT_S4_llllllllllllll15HIP_vector_typeIjLj3EESC_SC_SC_SC_,@function
_ZL16k_set_rows_quantIi10block_q5_0Li32ETnPFvPKfPT0_EXadL_ZL23quantize_f32_q5_0_blockS2_PS0_EEEvS2_PKT_S4_llllllllllllll15HIP_vector_typeIjLj3EESC_SC_SC_SC_: ; @_ZL16k_set_rows_quantIi10block_q5_0Li32ETnPFvPKfPT0_EXadL_ZL23quantize_f32_q5_0_blockS2_PS0_EEEvS2_PKT_S4_llllllllllllll15HIP_vector_typeIjLj3EESC_SC_SC_SC_
; %bb.0:
	s_load_dword s2, s[4:5], 0xd4
	s_load_dwordx2 s[0:1], s[4:5], 0x18
	v_mov_b32_e32 v1, 0
	v_mov_b32_e32 v2, s6
	s_waitcnt lgkmcnt(0)
	s_and_b32 s2, s2, 0xffff
	v_mad_u64_u32 v[2:3], s[2:3], s2, v2, v[0:1]
	v_cmp_gt_i64_e32 vcc, s[0:1], v[2:3]
	s_and_saveexec_b64 s[0:1], vcc
	s_cbranch_execz .LBB14_4
; %bb.1:
	s_load_dwordx4 s[36:39], s[4:5], 0x0
	s_load_dwordx2 s[6:7], s[4:5], 0x10
	s_load_dwordx16 s[8:23], s[4:5], 0x40
	s_load_dwordx8 s[24:31], s[4:5], 0x88
	s_load_dword s33, s[4:5], 0xc0
	s_load_dwordx2 s[34:35], s[4:5], 0xb8
	s_load_dwordx4 s[0:3], s[4:5], 0xa8
	v_lshlrev_b32_e32 v6, 5, v2
	s_waitcnt lgkmcnt(0)
	v_mul_hi_u32 v0, s24, v6
	v_add_u32_e32 v0, v6, v0
	v_lshrrev_b32_e32 v7, s25, v0
	v_mul_hi_u32 v0, v7, s27
	v_add_u32_e32 v0, v7, v0
	v_lshrrev_b32_e32 v0, s28, v0
	v_mul_lo_u32 v2, v0, s29
	v_sub_u32_e32 v8, v7, v2
	v_mul_hi_u32 v2, v0, s30
	v_add_u32_e32 v2, v0, v2
	v_lshrrev_b32_e32 v10, s31, v2
	v_mul_lo_u32 v2, v10, s0
	v_sub_u32_e32 v11, v0, v2
	;; [unrolled: 5-line block ×3, first 2 shown]
	v_mul_hi_u32 v0, v11, s1
	v_add_u32_e32 v0, v11, v0
	v_lshrrev_b32_e32 v0, s2, v0
	v_mul_lo_u32 v0, v0, s3
	v_mad_u64_u32 v[2:3], s[0:1], v8, s14, 0
	v_sub_u32_e32 v12, v11, v0
	v_mov_b32_e32 v0, v3
	v_mad_u64_u32 v[4:5], s[0:1], v8, s15, v[0:1]
	v_mov_b32_e32 v3, v4
	v_lshlrev_b64 v[2:3], 2, v[2:3]
	v_mov_b32_e32 v0, s39
	v_add_co_u32_e32 v13, vcc, s38, v2
	v_addc_co_u32_e32 v14, vcc, v0, v3, vcc
	v_mad_u64_u32 v[2:3], s[0:1], v12, s16, 0
	v_mov_b32_e32 v0, v3
	v_mad_u64_u32 v[4:5], s[0:1], v12, s17, v[0:1]
	v_mov_b32_e32 v3, v4
	v_lshlrev_b64 v[2:3], 2, v[2:3]
	v_add_co_u32_e32 v12, vcc, v13, v2
	v_addc_co_u32_e32 v13, vcc, v14, v3, vcc
	v_mad_u64_u32 v[2:3], s[0:1], v9, s18, 0
	v_mov_b32_e32 v0, v3
	v_mad_u64_u32 v[4:5], s[0:1], v9, s19, v[0:1]
	v_mov_b32_e32 v3, v4
	v_lshlrev_b64 v[2:3], 2, v[2:3]
	v_add_co_u32_e32 v2, vcc, v12, v2
	v_addc_co_u32_e32 v3, vcc, v13, v3, vcc
	global_load_dword v18, v[2:3], off
	s_load_dwordx2 s[0:1], s[4:5], 0x80
	v_mad_u64_u32 v[2:3], s[4:5], v8, s8, 0
	v_mov_b32_e32 v4, v3
	v_mul_lo_u32 v0, v7, s26
	v_mad_u64_u32 v[4:5], s[4:5], v8, s9, v[4:5]
	v_sub_u32_e32 v0, v6, v0
	v_mad_u64_u32 v[6:7], s[4:5], v10, s12, 0
	v_mov_b32_e32 v3, v4
	v_mad_u64_u32 v[4:5], s[4:5], v11, s10, 0
	v_mov_b32_e32 v8, v7
	v_lshlrev_b64 v[12:13], 2, v[2:3]
	v_mov_b32_e32 v2, v5
	v_mad_u64_u32 v[8:9], s[4:5], v10, s13, v[8:9]
	v_mad_u64_u32 v[2:3], s[4:5], v11, s11, v[2:3]
	v_mov_b32_e32 v14, s37
	v_mov_b32_e32 v7, v8
	v_add_co_u32_e32 v8, vcc, s36, v12
	v_mov_b32_e32 v5, v2
	v_addc_co_u32_e32 v9, vcc, v14, v13, vcc
	v_lshlrev_b64 v[16:17], 2, v[4:5]
	v_add_co_u32_e32 v2, vcc, v8, v16
	v_lshlrev_b64 v[14:15], 2, v[6:7]
	v_addc_co_u32_e32 v3, vcc, v9, v17, vcc
	v_add_co_u32_e32 v6, vcc, v2, v14
	v_addc_co_u32_e32 v7, vcc, v3, v15, vcc
	s_mov_b32 s3, 0
	s_waitcnt vmcnt(0)
	v_ashrrev_i32_e32 v4, 31, v18
	v_mul_lo_u32 v5, v18, s21
	v_mad_u64_u32 v[2:3], s[4:5], v18, s20, 0
	v_mul_lo_u32 v4, v4, s20
	v_add3_u32 v3, v3, v5, v4
	s_waitcnt lgkmcnt(0)
	v_mad_u64_u32 v[2:3], s[4:5], v10, s0, v[2:3]
	v_mov_b32_e32 v4, v3
	v_mad_u64_u32 v[4:5], s[0:1], v10, s1, v[4:5]
	v_mov_b32_e32 v3, v4
	v_mad_u64_u32 v[28:29], s[0:1], v11, s22, v[2:3]
	v_mov_b32_e32 v2, v29
	v_mad_u64_u32 v[30:31], s[0:1], v11, s23, v[2:3]
	v_lshlrev_b64 v[18:19], 2, v[0:1]
	s_add_u32 s0, 0, 0x2e8b0a00
	v_add_co_u32_e32 v10, vcc, v6, v18
	s_addc_u32 s1, 0, 42
	v_addc_co_u32_e32 v11, vcc, v7, v19, vcc
	s_add_i32 s1, s1, 0xba2e890
	s_mul_hi_u32 s8, s0, 0xffffffea
	global_load_dwordx4 v[6:9], v[10:11], off offset:16
	global_load_dwordx4 v[20:23], v[10:11], off
	s_sub_i32 s8, s8, s0
	s_mul_i32 s9, s1, 0xffffffea
	s_mul_i32 s2, s0, 0xffffffea
	s_add_i32 s8, s8, s9
	s_mul_hi_u32 s4, s1, s2
	s_mul_i32 s5, s1, s2
	s_mul_i32 s10, s0, s8
	s_mul_hi_u32 s2, s0, s2
	s_mul_hi_u32 s9, s0, s8
	s_add_u32 s2, s2, s10
	s_addc_u32 s9, 0, s9
	s_add_u32 s2, s2, s5
	s_mul_hi_u32 s10, s1, s8
	s_addc_u32 s2, s9, s4
	s_addc_u32 s4, s10, 0
	s_mul_i32 s5, s1, s8
	s_add_u32 s2, s2, s5
	v_mov_b32_e32 v2, s2
	s_addc_u32 s4, 0, s4
	v_add_co_u32_e32 v4, vcc, s0, v2
	s_cmp_lg_u64 vcc, 0
	s_addc_u32 s2, s1, s4
	v_mad_u64_u32 v[2:3], s[0:1], v28, s2, 0
	v_mul_hi_u32 v5, v28, v4
	v_add_co_u32_e32 v29, vcc, v5, v2
	v_addc_co_u32_e32 v31, vcc, 0, v3, vcc
	v_mad_u64_u32 v[32:33], s[0:1], v30, v4, 0
	global_load_dwordx4 v[2:5], v[10:11], off offset:48
	global_load_dwordx4 v[24:27], v[10:11], off offset:32
	v_add_co_u32_e32 v29, vcc, v29, v32
	v_mad_u64_u32 v[34:35], s[0:1], v30, s2, 0
	v_addc_co_u32_e32 v29, vcc, v31, v33, vcc
	v_addc_co_u32_e32 v31, vcc, 0, v35, vcc
	v_add_co_u32_e32 v44, vcc, v29, v34
	v_mad_u64_u32 v[32:33], s[0:1], v44, 22, 0
	v_addc_co_u32_e32 v36, vcc, 0, v31, vcc
	v_mov_b32_e32 v34, v33
	v_mad_u64_u32 v[34:35], s[0:1], v36, 22, v[34:35]
	v_sub_co_u32_e32 v37, vcc, v28, v32
	v_subb_co_u32_e32 v38, vcc, v30, v34, vcc
	global_load_dwordx4 v[28:31], v[10:11], off offset:80
	global_load_dwordx4 v[32:35], v[10:11], off offset:64
	v_subrev_co_u32_e32 v39, vcc, 22, v37
	v_subbrev_co_u32_e32 v40, vcc, 0, v38, vcc
	v_cmp_lt_u32_e32 vcc, 21, v39
	v_cndmask_b32_e64 v39, 0, -1, vcc
	v_cmp_eq_u32_e32 vcc, 0, v40
	v_cndmask_b32_e32 v39, -1, v39, vcc
	v_add_co_u32_e32 v45, vcc, 2, v44
	v_addc_co_u32_e32 v40, vcc, 0, v36, vcc
	v_add_co_u32_e32 v46, vcc, 1, v44
	v_cmp_lt_u32_e64 s[0:1], 21, v37
	v_addc_co_u32_e32 v41, vcc, 0, v36, vcc
	v_cndmask_b32_e64 v37, 0, -1, s[0:1]
	v_cmp_eq_u32_e64 s[0:1], 0, v38
	v_cmp_ne_u32_e32 vcc, 0, v39
	v_cndmask_b32_e64 v37, -1, v37, s[0:1]
	v_cndmask_b32_e32 v39, v41, v40, vcc
	v_cmp_ne_u32_e64 s[0:1], 0, v37
	v_cndmask_b32_e64 v47, v36, v39, s[0:1]
	global_load_dwordx4 v[36:39], v[10:11], off offset:112
	global_load_dwordx4 v[40:43], v[10:11], off offset:96
	v_cndmask_b32_e32 v45, v46, v45, vcc
	s_waitcnt vmcnt(6)
	v_cmp_lg_f32_e32 vcc, 0, v20
	v_cndmask_b32_e32 v48, 0, v20, vcc
	v_cndmask_b32_e64 v20, 0, |v20|, vcc
	v_cmp_lt_f32_e64 vcc, v20, |v21|
	v_cndmask_b32_e64 v20, v20, |v21|, vcc
	v_cndmask_b32_e32 v48, v48, v21, vcc
	v_cmp_lt_f32_e64 vcc, v20, |v22|
	v_cndmask_b32_e64 v20, v20, |v22|, vcc
	v_cndmask_b32_e32 v21, v48, v22, vcc
	;; [unrolled: 3-line block ×3, first 2 shown]
	v_cmp_lt_f32_e64 vcc, v20, |v6|
	v_cndmask_b32_e32 v21, v21, v6, vcc
	v_cndmask_b32_e64 v6, v20, |v6|, vcc
	v_cmp_lt_f32_e64 vcc, v6, |v7|
	v_cndmask_b32_e64 v6, v6, |v7|, vcc
	v_cndmask_b32_e32 v20, v21, v7, vcc
	v_cmp_lt_f32_e64 vcc, v6, |v8|
	v_cndmask_b32_e64 v6, v6, |v8|, vcc
	v_cndmask_b32_e32 v7, v20, v8, vcc
	;; [unrolled: 3-line block ×3, first 2 shown]
	v_cndmask_b32_e64 v46, v44, v45, s[0:1]
	v_mad_u64_u32 v[44:45], s[0:1], v46, 22, s[6:7]
	v_mul_lo_u32 v47, v47, 22
	v_add_u32_e32 v45, v47, v45
	v_lshrrev_b32_e32 v0, 5, v0
	s_mov_b32 s4, 0
	s_waitcnt vmcnt(4)
	v_cmp_lt_f32_e64 vcc, v6, |v24|
	v_cndmask_b32_e64 v6, v6, |v24|, vcc
	v_cndmask_b32_e32 v7, v7, v24, vcc
	v_cmp_lt_f32_e64 vcc, v6, |v25|
	v_cndmask_b32_e64 v6, v6, |v25|, vcc
	v_cndmask_b32_e32 v7, v7, v25, vcc
	;; [unrolled: 3-line block ×4, first 2 shown]
	v_cmp_lt_f32_e64 vcc, v6, |v2|
	v_cndmask_b32_e32 v7, v7, v2, vcc
	v_cndmask_b32_e64 v2, v6, |v2|, vcc
	v_cmp_lt_f32_e64 vcc, v2, |v3|
	v_cndmask_b32_e64 v2, v2, |v3|, vcc
	v_cndmask_b32_e32 v6, v7, v3, vcc
	v_cmp_lt_f32_e64 vcc, v2, |v4|
	v_cndmask_b32_e64 v2, v2, |v4|, vcc
	v_cndmask_b32_e32 v3, v6, v4, vcc
	v_cmp_lt_f32_e64 vcc, v2, |v5|
	v_cndmask_b32_e64 v2, v2, |v5|, vcc
	v_cndmask_b32_e32 v3, v3, v5, vcc
	s_waitcnt vmcnt(2)
	v_cmp_lt_f32_e64 vcc, v2, |v32|
	v_cndmask_b32_e64 v2, v2, |v32|, vcc
	v_cndmask_b32_e32 v3, v3, v32, vcc
	v_cmp_lt_f32_e64 vcc, v2, |v33|
	v_cndmask_b32_e64 v2, v2, |v33|, vcc
	v_cndmask_b32_e32 v3, v3, v33, vcc
	;; [unrolled: 3-line block ×8, first 2 shown]
	s_waitcnt vmcnt(0)
	v_cmp_lt_f32_e64 vcc, v2, |v40|
	v_cndmask_b32_e64 v2, v2, |v40|, vcc
	v_cndmask_b32_e32 v3, v3, v40, vcc
	v_cmp_lt_f32_e64 vcc, v2, |v41|
	v_cndmask_b32_e64 v2, v2, |v41|, vcc
	v_cndmask_b32_e32 v3, v3, v41, vcc
	;; [unrolled: 3-line block ×7, first 2 shown]
	v_cmp_lt_f32_e64 vcc, v2, |v39|
	v_cndmask_b32_e32 v4, v3, v39, vcc
	v_mul_f32_e32 v5, 0xbd800000, v4
	v_div_scale_f32 v6, s[0:1], v5, v5, 1.0
	v_rcp_f32_e32 v7, v6
	v_mad_u64_u32 v[2:3], s[0:1], v0, 22, v[44:45]
	s_mov_b32 s0, 0xbd800000
	v_fma_f32 v8, -v6, v7, 1.0
	v_fmac_f32_e32 v7, v8, v7
	v_div_scale_f32 v8, vcc, 1.0, v5, 1.0
	v_mul_f32_e32 v9, v8, v7
	v_fma_f32 v20, -v6, v9, v8
	v_fmac_f32_e32 v9, v20, v7
	v_fma_f32 v6, -v6, v9, v8
	v_mul_lo_u32 v0, v0, 22
	v_div_fmas_f32 v6, v6, v7, v9
	v_fma_mixlo_f16 v4, v4, s0, 0
	v_div_fixup_f32 v6, v6, v5, 1.0
	v_cmp_neq_f32_e32 vcc, 0, v5
	global_store_short v[2:3], v4, off
	v_mad_u64_u32 v[4:5], s[0:1], v46, 22, v[0:1]
	v_cndmask_b32_e32 v6, 0, v6, vcc
	v_add_u32_e32 v5, v47, v5
	v_mov_b32_e32 v7, s7
	v_add_co_u32_e32 v0, vcc, s6, v4
	v_addc_co_u32_e32 v7, vcc, v7, v5, vcc
	v_add_co_u32_e32 v4, vcc, v14, v16
	v_addc_co_u32_e32 v5, vcc, v15, v17, vcc
	;; [unrolled: 2-line block ×4, first 2 shown]
	v_mov_b32_e32 v8, s37
	v_add_co_u32_e32 v4, vcc, s36, v4
	v_addc_co_u32_e32 v5, vcc, v5, v8, vcc
	v_add_co_u32_e32 v4, vcc, 64, v4
	v_addc_co_u32_e32 v5, vcc, 0, v5, vcc
	s_mov_b64 s[0:1], 0
	v_mov_b32_e32 v8, 0x41840000
	s_mov_b32 s5, 0x403f0000
	s_mov_b32 s6, 0x4020c0c
	v_mov_b32_e32 v9, 15
	v_mov_b32_e32 v13, 0
	;; [unrolled: 1-line block ×4, first 2 shown]
.LBB14_2:                               ; =>This Inner Loop Header: Depth=1
	global_load_dwordx2 v[16:17], v[4:5], off offset:-64
	global_load_dword v20, v[4:5], off
	s_or_b32 s2, s0, 17
	s_lshl_b64 s[8:9], s[2:3], 2
	v_mov_b32_e32 v15, s9
	v_add_co_u32_e32 v18, vcc, s8, v10
	v_addc_co_u32_e32 v19, vcc, v11, v15, vcc
	global_load_dword v18, v[18:19], off
	v_lshlrev_b32_e32 v19, 16, v14
	v_lshlrev_b32_e32 v13, 8, v13
	v_and_b32_e32 v1, 0xff, v1
	v_perm_b32 v12, v12, v19, s6
	v_and_b32_e32 v13, 0xff00, v13
	v_or3_b32 v1, v12, v13, v1
	s_add_i32 s7, s0, 16
	v_add_co_u32_e32 v4, vcc, 8, v4
	s_add_i32 s8, s0, 1
	v_addc_co_u32_e32 v5, vcc, 0, v5, vcc
	v_mov_b32_e32 v15, s1
	v_add_co_u32_e32 v14, vcc, s0, v0
	v_addc_co_u32_e32 v15, vcc, v7, v15, vcc
	s_waitcnt vmcnt(2)
	v_fma_f32 v12, v6, v16, v8
	s_waitcnt vmcnt(1)
	v_fma_f32 v13, v6, v20, v8
	v_fma_f32 v16, v6, v17, v8
	v_cvt_i32_f32_e32 v12, v12
	v_cvt_i32_f32_e32 v17, v13
	;; [unrolled: 1-line block ×3, first 2 shown]
	v_cvt_f64_i32_e32 v[12:13], v12
	v_cvt_f64_i32_e32 v[16:17], v17
	s_waitcnt vmcnt(0)
	v_fma_f32 v20, v6, v18, v8
	v_cvt_i32_f32_e32 v20, v20
	v_cvt_f64_i32_e32 v[18:19], v19
	v_min_f64 v[12:13], v[12:13], s[4:5]
	v_min_f64 v[16:17], v[16:17], s[4:5]
	;; [unrolled: 1-line block ×3, first 2 shown]
	v_cvt_i32_f64_e32 v12, v[12:13]
	v_cvt_i32_f64_e32 v13, v[16:17]
	;; [unrolled: 1-line block ×3, first 2 shown]
	v_and_b32_e32 v17, 15, v12
	v_lshlrev_b16_e32 v18, 4, v13
	v_lshrrev_b16_e32 v12, 4, v12
	v_lshrrev_b16_e32 v13, 4, v13
	v_or_b32_e32 v17, v18, v17
	v_and_b32_e32 v18, 1, v12
	v_and_b32_e32 v21, 1, v13
	v_cvt_f64_i32_e32 v[12:13], v20
	v_min_f64 v[12:13], v[12:13], s[4:5]
	v_and_b32_sdwa v19, v16, v9 dst_sel:BYTE_1 dst_unused:UNUSED_PAD src0_sel:DWORD src1_sel:DWORD
	v_lshrrev_b16_e32 v16, 4, v16
	v_cvt_i32_f64_e32 v12, v[12:13]
	v_and_b32_e32 v16, 1, v16
	v_lshlrev_b32_sdwa v18, s0, v18 dst_sel:DWORD dst_unused:UNUSED_PAD src0_sel:DWORD src1_sel:WORD_0
	v_lshlrev_b32_sdwa v20, s7, v21 dst_sel:DWORD dst_unused:UNUSED_PAD src0_sel:DWORD src1_sel:WORD_0
	v_lshlrev_b16_e32 v13, 12, v12
	v_lshrrev_b16_e32 v12, 4, v12
	v_and_b32_e32 v16, 0xffff, v16
	v_or3_b32 v1, v18, v1, v20
	v_and_b32_e32 v12, 1, v12
	s_add_u32 s0, s0, 2
	v_lshl_or_b32 v1, v16, s8, v1
	v_or_b32_e32 v16, v13, v19
	v_and_b32_e32 v12, 0xffff, v12
	s_addc_u32 s1, s1, 0
	v_or_b32_sdwa v16, v17, v16 dst_sel:DWORD dst_unused:UNUSED_PAD src0_sel:BYTE_0 src1_sel:DWORD
	v_lshl_or_b32 v12, v12, s2, v1
	s_cmp_lg_u32 s0, 16
	v_lshrrev_b32_e32 v13, 8, v1
	global_store_short v[14:15], v16, off offset:6
	v_lshrrev_b32_e32 v14, 16, v12
	v_lshrrev_b32_e32 v12, 24, v12
	s_cbranch_scc1 .LBB14_2
; %bb.3:
	v_lshlrev_b16_e32 v0, 8, v13
	v_or_b32_sdwa v0, v1, v0 dst_sel:DWORD dst_unused:UNUSED_PAD src0_sel:BYTE_0 src1_sel:DWORD
	v_lshlrev_b16_e32 v1, 8, v12
	v_or_b32_sdwa v1, v14, v1 dst_sel:WORD_1 dst_unused:UNUSED_PAD src0_sel:BYTE_0 src1_sel:DWORD
	v_or_b32_sdwa v0, v0, v1 dst_sel:DWORD dst_unused:UNUSED_PAD src0_sel:WORD_0 src1_sel:DWORD
	global_store_dword v[2:3], v0, off offset:2
.LBB14_4:
	s_endpgm
	.section	.rodata,"a",@progbits
	.p2align	6, 0x0
	.amdhsa_kernel _ZL16k_set_rows_quantIi10block_q5_0Li32ETnPFvPKfPT0_EXadL_ZL23quantize_f32_q5_0_blockS2_PS0_EEEvS2_PKT_S4_llllllllllllll15HIP_vector_typeIjLj3EESC_SC_SC_SC_
		.amdhsa_group_segment_fixed_size 0
		.amdhsa_private_segment_fixed_size 0
		.amdhsa_kernarg_size 456
		.amdhsa_user_sgpr_count 6
		.amdhsa_user_sgpr_private_segment_buffer 1
		.amdhsa_user_sgpr_dispatch_ptr 0
		.amdhsa_user_sgpr_queue_ptr 0
		.amdhsa_user_sgpr_kernarg_segment_ptr 1
		.amdhsa_user_sgpr_dispatch_id 0
		.amdhsa_user_sgpr_flat_scratch_init 0
		.amdhsa_user_sgpr_kernarg_preload_length 0
		.amdhsa_user_sgpr_kernarg_preload_offset 0
		.amdhsa_user_sgpr_private_segment_size 0
		.amdhsa_uses_dynamic_stack 0
		.amdhsa_system_sgpr_private_segment_wavefront_offset 0
		.amdhsa_system_sgpr_workgroup_id_x 1
		.amdhsa_system_sgpr_workgroup_id_y 0
		.amdhsa_system_sgpr_workgroup_id_z 0
		.amdhsa_system_sgpr_workgroup_info 0
		.amdhsa_system_vgpr_workitem_id 0
		.amdhsa_next_free_vgpr 49
		.amdhsa_next_free_sgpr 40
		.amdhsa_accum_offset 52
		.amdhsa_reserve_vcc 1
		.amdhsa_reserve_flat_scratch 0
		.amdhsa_float_round_mode_32 0
		.amdhsa_float_round_mode_16_64 0
		.amdhsa_float_denorm_mode_32 3
		.amdhsa_float_denorm_mode_16_64 3
		.amdhsa_dx10_clamp 1
		.amdhsa_ieee_mode 1
		.amdhsa_fp16_overflow 0
		.amdhsa_tg_split 0
		.amdhsa_exception_fp_ieee_invalid_op 0
		.amdhsa_exception_fp_denorm_src 0
		.amdhsa_exception_fp_ieee_div_zero 0
		.amdhsa_exception_fp_ieee_overflow 0
		.amdhsa_exception_fp_ieee_underflow 0
		.amdhsa_exception_fp_ieee_inexact 0
		.amdhsa_exception_int_div_zero 0
	.end_amdhsa_kernel
	.section	.text._ZL16k_set_rows_quantIi10block_q5_0Li32ETnPFvPKfPT0_EXadL_ZL23quantize_f32_q5_0_blockS2_PS0_EEEvS2_PKT_S4_llllllllllllll15HIP_vector_typeIjLj3EESC_SC_SC_SC_,"axG",@progbits,_ZL16k_set_rows_quantIi10block_q5_0Li32ETnPFvPKfPT0_EXadL_ZL23quantize_f32_q5_0_blockS2_PS0_EEEvS2_PKT_S4_llllllllllllll15HIP_vector_typeIjLj3EESC_SC_SC_SC_,comdat
.Lfunc_end14:
	.size	_ZL16k_set_rows_quantIi10block_q5_0Li32ETnPFvPKfPT0_EXadL_ZL23quantize_f32_q5_0_blockS2_PS0_EEEvS2_PKT_S4_llllllllllllll15HIP_vector_typeIjLj3EESC_SC_SC_SC_, .Lfunc_end14-_ZL16k_set_rows_quantIi10block_q5_0Li32ETnPFvPKfPT0_EXadL_ZL23quantize_f32_q5_0_blockS2_PS0_EEEvS2_PKT_S4_llllllllllllll15HIP_vector_typeIjLj3EESC_SC_SC_SC_
                                        ; -- End function
	.section	.AMDGPU.csdata,"",@progbits
; Kernel info:
; codeLenInByte = 2372
; NumSgprs: 44
; NumVgprs: 49
; NumAgprs: 0
; TotalNumVgprs: 49
; ScratchSize: 0
; MemoryBound: 0
; FloatMode: 240
; IeeeMode: 1
; LDSByteSize: 0 bytes/workgroup (compile time only)
; SGPRBlocks: 5
; VGPRBlocks: 6
; NumSGPRsForWavesPerEU: 44
; NumVGPRsForWavesPerEU: 49
; AccumOffset: 52
; Occupancy: 8
; WaveLimiterHint : 1
; COMPUTE_PGM_RSRC2:SCRATCH_EN: 0
; COMPUTE_PGM_RSRC2:USER_SGPR: 6
; COMPUTE_PGM_RSRC2:TRAP_HANDLER: 0
; COMPUTE_PGM_RSRC2:TGID_X_EN: 1
; COMPUTE_PGM_RSRC2:TGID_Y_EN: 0
; COMPUTE_PGM_RSRC2:TGID_Z_EN: 0
; COMPUTE_PGM_RSRC2:TIDIG_COMP_CNT: 0
; COMPUTE_PGM_RSRC3_GFX90A:ACCUM_OFFSET: 12
; COMPUTE_PGM_RSRC3_GFX90A:TG_SPLIT: 0
	.section	.text._ZL16k_set_rows_quantIi10block_q5_1Li32ETnPFvPKfPT0_EXadL_ZL23quantize_f32_q5_1_blockS2_PS0_EEEvS2_PKT_S4_llllllllllllll15HIP_vector_typeIjLj3EESC_SC_SC_SC_,"axG",@progbits,_ZL16k_set_rows_quantIi10block_q5_1Li32ETnPFvPKfPT0_EXadL_ZL23quantize_f32_q5_1_blockS2_PS0_EEEvS2_PKT_S4_llllllllllllll15HIP_vector_typeIjLj3EESC_SC_SC_SC_,comdat
	.globl	_ZL16k_set_rows_quantIi10block_q5_1Li32ETnPFvPKfPT0_EXadL_ZL23quantize_f32_q5_1_blockS2_PS0_EEEvS2_PKT_S4_llllllllllllll15HIP_vector_typeIjLj3EESC_SC_SC_SC_ ; -- Begin function _ZL16k_set_rows_quantIi10block_q5_1Li32ETnPFvPKfPT0_EXadL_ZL23quantize_f32_q5_1_blockS2_PS0_EEEvS2_PKT_S4_llllllllllllll15HIP_vector_typeIjLj3EESC_SC_SC_SC_
	.p2align	8
	.type	_ZL16k_set_rows_quantIi10block_q5_1Li32ETnPFvPKfPT0_EXadL_ZL23quantize_f32_q5_1_blockS2_PS0_EEEvS2_PKT_S4_llllllllllllll15HIP_vector_typeIjLj3EESC_SC_SC_SC_,@function
_ZL16k_set_rows_quantIi10block_q5_1Li32ETnPFvPKfPT0_EXadL_ZL23quantize_f32_q5_1_blockS2_PS0_EEEvS2_PKT_S4_llllllllllllll15HIP_vector_typeIjLj3EESC_SC_SC_SC_: ; @_ZL16k_set_rows_quantIi10block_q5_1Li32ETnPFvPKfPT0_EXadL_ZL23quantize_f32_q5_1_blockS2_PS0_EEEvS2_PKT_S4_llllllllllllll15HIP_vector_typeIjLj3EESC_SC_SC_SC_
; %bb.0:
	s_load_dword s2, s[4:5], 0xd4
	s_load_dwordx2 s[0:1], s[4:5], 0x18
	v_mov_b32_e32 v1, 0
	v_mov_b32_e32 v2, s6
	s_waitcnt lgkmcnt(0)
	s_and_b32 s2, s2, 0xffff
	v_mad_u64_u32 v[2:3], s[2:3], s2, v2, v[0:1]
	v_cmp_gt_i64_e32 vcc, s[0:1], v[2:3]
	s_and_saveexec_b64 s[0:1], vcc
	s_cbranch_execz .LBB15_4
; %bb.1:
	s_load_dwordx4 s[36:39], s[4:5], 0x0
	s_load_dwordx2 s[6:7], s[4:5], 0x10
	s_load_dwordx16 s[8:23], s[4:5], 0x40
	s_load_dwordx8 s[24:31], s[4:5], 0x88
	s_load_dword s33, s[4:5], 0xc0
	s_load_dwordx2 s[34:35], s[4:5], 0xb8
	s_load_dwordx4 s[0:3], s[4:5], 0xa8
	v_lshlrev_b32_e32 v6, 5, v2
	s_waitcnt lgkmcnt(0)
	v_mul_hi_u32 v0, s24, v6
	v_add_u32_e32 v0, v6, v0
	v_lshrrev_b32_e32 v7, s25, v0
	v_mul_hi_u32 v0, v7, s27
	v_add_u32_e32 v0, v7, v0
	v_lshrrev_b32_e32 v0, s28, v0
	v_mul_lo_u32 v2, v0, s29
	v_sub_u32_e32 v8, v7, v2
	v_mul_hi_u32 v2, v0, s30
	v_add_u32_e32 v2, v0, v2
	v_lshrrev_b32_e32 v10, s31, v2
	v_mul_lo_u32 v2, v10, s0
	v_sub_u32_e32 v11, v0, v2
	;; [unrolled: 5-line block ×3, first 2 shown]
	v_mul_hi_u32 v0, v11, s1
	v_add_u32_e32 v0, v11, v0
	v_lshrrev_b32_e32 v0, s2, v0
	v_mul_lo_u32 v0, v0, s3
	v_mad_u64_u32 v[2:3], s[0:1], v8, s14, 0
	v_sub_u32_e32 v12, v11, v0
	v_mov_b32_e32 v0, v3
	v_mad_u64_u32 v[4:5], s[0:1], v8, s15, v[0:1]
	v_mov_b32_e32 v3, v4
	v_lshlrev_b64 v[2:3], 2, v[2:3]
	v_mov_b32_e32 v0, s39
	v_add_co_u32_e32 v13, vcc, s38, v2
	v_addc_co_u32_e32 v14, vcc, v0, v3, vcc
	v_mad_u64_u32 v[2:3], s[0:1], v12, s16, 0
	v_mov_b32_e32 v0, v3
	v_mad_u64_u32 v[4:5], s[0:1], v12, s17, v[0:1]
	v_mov_b32_e32 v3, v4
	v_lshlrev_b64 v[2:3], 2, v[2:3]
	v_add_co_u32_e32 v12, vcc, v13, v2
	v_addc_co_u32_e32 v13, vcc, v14, v3, vcc
	v_mad_u64_u32 v[2:3], s[0:1], v9, s18, 0
	v_mov_b32_e32 v0, v3
	v_mad_u64_u32 v[4:5], s[0:1], v9, s19, v[0:1]
	v_mov_b32_e32 v3, v4
	v_lshlrev_b64 v[2:3], 2, v[2:3]
	v_add_co_u32_e32 v2, vcc, v12, v2
	v_addc_co_u32_e32 v3, vcc, v13, v3, vcc
	global_load_dword v12, v[2:3], off
	s_load_dwordx2 s[0:1], s[4:5], 0x80
	v_mad_u64_u32 v[2:3], s[4:5], v8, s8, 0
	v_mov_b32_e32 v4, v3
	v_mul_lo_u32 v0, v7, s26
	v_mad_u64_u32 v[4:5], s[4:5], v8, s9, v[4:5]
	v_sub_u32_e32 v0, v6, v0
	v_mad_u64_u32 v[6:7], s[4:5], v10, s12, 0
	v_mov_b32_e32 v3, v4
	v_mad_u64_u32 v[4:5], s[4:5], v11, s10, 0
	v_mov_b32_e32 v8, v7
	v_lshlrev_b64 v[20:21], 2, v[2:3]
	v_mov_b32_e32 v2, v5
	v_mad_u64_u32 v[8:9], s[4:5], v10, s13, v[8:9]
	v_mad_u64_u32 v[2:3], s[4:5], v11, s11, v[2:3]
	v_mov_b32_e32 v13, s37
	v_mov_b32_e32 v7, v8
	v_add_co_u32_e32 v8, vcc, s36, v20
	v_mov_b32_e32 v5, v2
	v_addc_co_u32_e32 v9, vcc, v13, v21, vcc
	v_lshlrev_b64 v[24:25], 2, v[4:5]
	v_add_co_u32_e32 v2, vcc, v8, v24
	v_lshlrev_b64 v[22:23], 2, v[6:7]
	v_addc_co_u32_e32 v3, vcc, v9, v25, vcc
	v_add_co_u32_e32 v6, vcc, v2, v22
	v_addc_co_u32_e32 v7, vcc, v3, v23, vcc
	v_lshlrev_b64 v[26:27], 2, v[0:1]
	v_add_co_u32_e32 v18, vcc, v6, v26
	v_addc_co_u32_e32 v19, vcc, v7, v27, vcc
	global_load_dwordx4 v[6:9], v[18:19], off offset:16
	global_load_dwordx4 v[14:17], v[18:19], off
	v_lshrrev_b32_e32 v0, 5, v0
	s_mov_b32 s3, 0
	s_waitcnt vmcnt(2)
	v_ashrrev_i32_e32 v4, 31, v12
	v_mul_lo_u32 v5, v12, s21
	v_mad_u64_u32 v[2:3], s[4:5], v12, s20, 0
	v_mul_lo_u32 v4, v4, s20
	v_add3_u32 v3, v3, v5, v4
	s_waitcnt lgkmcnt(0)
	v_mad_u64_u32 v[2:3], s[4:5], v10, s0, v[2:3]
	v_mov_b32_e32 v4, v3
	v_mad_u64_u32 v[4:5], s[0:1], v10, s1, v[4:5]
	v_mov_b32_e32 v3, v4
	;; [unrolled: 2-line block ×3, first 2 shown]
	v_mad_u64_u32 v[30:31], s[0:1], v11, s23, v[2:3]
	s_add_u32 s0, 0, 0xaaaa0000
	s_addc_u32 s1, 0, 42
	s_add_i32 s1, s1, 0xaaaaa80
	s_mul_hi_u32 s8, s0, 0xffffffe8
	s_sub_i32 s8, s8, s0
	s_mul_i32 s9, s1, 0xffffffe8
	s_mul_i32 s2, s0, 0xffffffe8
	s_add_i32 s8, s8, s9
	s_mul_hi_u32 s4, s1, s2
	s_mul_i32 s5, s1, s2
	s_mul_i32 s10, s0, s8
	s_mul_hi_u32 s2, s0, s2
	s_mul_hi_u32 s9, s0, s8
	s_add_u32 s2, s2, s10
	s_addc_u32 s9, 0, s9
	s_add_u32 s2, s2, s5
	s_mul_hi_u32 s10, s1, s8
	s_addc_u32 s2, s9, s4
	s_addc_u32 s4, s10, 0
	s_mul_i32 s5, s1, s8
	s_add_u32 s2, s2, s5
	v_mov_b32_e32 v2, s2
	s_addc_u32 s4, 0, s4
	v_add_co_u32_e32 v4, vcc, s0, v2
	s_cmp_lg_u64 vcc, 0
	s_addc_u32 s2, s1, s4
	v_mad_u64_u32 v[2:3], s[0:1], v28, s2, 0
	v_mul_hi_u32 v5, v28, v4
	v_add_co_u32_e32 v29, vcc, v5, v2
	v_addc_co_u32_e32 v31, vcc, 0, v3, vcc
	v_mad_u64_u32 v[32:33], s[0:1], v30, v4, 0
	global_load_dwordx4 v[2:5], v[18:19], off offset:48
	global_load_dwordx4 v[10:13], v[18:19], off offset:32
	v_add_co_u32_e32 v29, vcc, v29, v32
	v_mad_u64_u32 v[34:35], s[0:1], v30, s2, 0
	v_addc_co_u32_e32 v29, vcc, v31, v33, vcc
	v_addc_co_u32_e32 v31, vcc, 0, v35, vcc
	v_add_co_u32_e32 v29, vcc, v29, v34
	v_mad_u64_u32 v[32:33], s[0:1], v29, 24, 0
	v_addc_co_u32_e32 v38, vcc, 0, v31, vcc
	v_mov_b32_e32 v34, v33
	v_mad_u64_u32 v[34:35], s[0:1], v38, 24, v[34:35]
	v_sub_co_u32_e32 v28, vcc, v28, v32
	v_subb_co_u32_e32 v39, vcc, v30, v34, vcc
	v_subrev_co_u32_e32 v30, vcc, 24, v28
	v_subbrev_co_u32_e32 v31, vcc, 0, v39, vcc
	v_cmp_lt_u32_e32 vcc, 23, v30
	v_cndmask_b32_e64 v30, 0, -1, vcc
	v_cmp_eq_u32_e32 vcc, 0, v31
	v_cndmask_b32_e32 v40, -1, v30, vcc
	global_load_dwordx4 v[30:33], v[18:19], off offset:80
	global_load_dwordx4 v[34:37], v[18:19], off offset:64
	v_add_co_u32_e32 v41, vcc, 2, v29
	v_addc_co_u32_e32 v42, vcc, 0, v38, vcc
	v_add_co_u32_e32 v43, vcc, 1, v29
	v_cmp_lt_u32_e64 s[0:1], 23, v28
	v_addc_co_u32_e32 v44, vcc, 0, v38, vcc
	v_cndmask_b32_e64 v28, 0, -1, s[0:1]
	v_cmp_eq_u32_e64 s[0:1], 0, v39
	v_cmp_ne_u32_e32 vcc, 0, v40
	v_cndmask_b32_e64 v28, -1, v28, s[0:1]
	v_cndmask_b32_e32 v40, v44, v42, vcc
	v_cmp_ne_u32_e64 s[0:1], 0, v28
	v_cndmask_b32_e32 v28, v43, v41, vcc
	s_waitcnt vmcnt(4)
	v_cmp_lt_f32_e32 vcc, v15, v14
	v_cndmask_b32_e64 v42, v38, v40, s[0:1]
	v_cndmask_b32_e32 v38, v14, v15, vcc
	v_cmp_gt_f32_e32 vcc, v15, v14
	v_cndmask_b32_e32 v14, v14, v15, vcc
	v_cmp_lt_f32_e32 vcc, v16, v38
	v_cndmask_b32_e32 v15, v38, v16, vcc
	v_cmp_gt_f32_e32 vcc, v16, v14
	v_cndmask_b32_e32 v14, v14, v16, vcc
	v_cmp_lt_f32_e32 vcc, v17, v15
	v_cndmask_b32_e32 v44, v15, v17, vcc
	v_cmp_gt_f32_e32 vcc, v17, v14
	v_cndmask_b32_e32 v45, v14, v17, vcc
	global_load_dwordx4 v[14:17], v[18:19], off offset:112
	global_load_dwordx4 v[38:41], v[18:19], off offset:96
	v_cmp_lt_f32_e32 vcc, v6, v44
	v_cndmask_b32_e32 v44, v44, v6, vcc
	v_cmp_gt_f32_e32 vcc, v6, v45
	v_cndmask_b32_e32 v6, v45, v6, vcc
	v_cmp_lt_f32_e32 vcc, v7, v44
	v_cndmask_b32_e32 v44, v44, v7, vcc
	v_cmp_gt_f32_e32 vcc, v7, v6
	v_cndmask_b32_e32 v6, v6, v7, vcc
	;; [unrolled: 4-line block ×4, first 2 shown]
	s_mov_b32 s2, 0x41f80000
	v_cndmask_b32_e64 v43, v29, v28, s[0:1]
	v_mad_u64_u32 v[28:29], s[0:1], v43, 24, s[6:7]
	s_waitcnt vmcnt(4)
	v_cmp_lt_f32_e32 vcc, v10, v7
	v_cndmask_b32_e32 v7, v7, v10, vcc
	v_cmp_gt_f32_e32 vcc, v10, v6
	v_cndmask_b32_e32 v6, v6, v10, vcc
	v_cmp_lt_f32_e32 vcc, v11, v7
	v_cndmask_b32_e32 v7, v7, v11, vcc
	v_cmp_gt_f32_e32 vcc, v11, v6
	v_cndmask_b32_e32 v6, v6, v11, vcc
	v_cmp_lt_f32_e32 vcc, v12, v7
	v_cndmask_b32_e32 v7, v7, v12, vcc
	v_cmp_gt_f32_e32 vcc, v12, v6
	v_cndmask_b32_e32 v6, v6, v12, vcc
	v_cmp_lt_f32_e32 vcc, v13, v7
	v_cndmask_b32_e32 v7, v7, v13, vcc
	v_cmp_gt_f32_e32 vcc, v13, v6
	v_cndmask_b32_e32 v6, v6, v13, vcc
	v_cmp_lt_f32_e32 vcc, v2, v7
	v_cndmask_b32_e32 v7, v7, v2, vcc
	v_cmp_gt_f32_e32 vcc, v2, v6
	v_cndmask_b32_e32 v2, v6, v2, vcc
	v_cmp_lt_f32_e32 vcc, v3, v7
	v_cndmask_b32_e32 v6, v7, v3, vcc
	v_cmp_gt_f32_e32 vcc, v3, v2
	v_cndmask_b32_e32 v2, v2, v3, vcc
	v_cmp_lt_f32_e32 vcc, v4, v6
	v_cndmask_b32_e32 v3, v6, v4, vcc
	v_cmp_gt_f32_e32 vcc, v4, v2
	v_cndmask_b32_e32 v2, v2, v4, vcc
	v_cmp_lt_f32_e32 vcc, v5, v3
	v_cndmask_b32_e32 v3, v3, v5, vcc
	v_cmp_gt_f32_e32 vcc, v5, v2
	v_cndmask_b32_e32 v2, v2, v5, vcc
	s_waitcnt vmcnt(2)
	v_cmp_lt_f32_e32 vcc, v34, v3
	v_cndmask_b32_e32 v3, v3, v34, vcc
	v_cmp_gt_f32_e32 vcc, v34, v2
	v_cndmask_b32_e32 v2, v2, v34, vcc
	v_cmp_lt_f32_e32 vcc, v35, v3
	v_cndmask_b32_e32 v3, v3, v35, vcc
	v_cmp_gt_f32_e32 vcc, v35, v2
	v_cndmask_b32_e32 v2, v2, v35, vcc
	v_cmp_lt_f32_e32 vcc, v36, v3
	v_cndmask_b32_e32 v3, v3, v36, vcc
	v_cmp_gt_f32_e32 vcc, v36, v2
	v_cndmask_b32_e32 v2, v2, v36, vcc
	v_cmp_lt_f32_e32 vcc, v37, v3
	v_cndmask_b32_e32 v3, v3, v37, vcc
	v_cmp_gt_f32_e32 vcc, v37, v2
	v_cndmask_b32_e32 v2, v2, v37, vcc
	v_cmp_lt_f32_e32 vcc, v30, v3
	v_cndmask_b32_e32 v3, v3, v30, vcc
	v_cmp_gt_f32_e32 vcc, v30, v2
	v_cndmask_b32_e32 v2, v2, v30, vcc
	v_cmp_lt_f32_e32 vcc, v31, v3
	v_cndmask_b32_e32 v3, v3, v31, vcc
	v_cmp_gt_f32_e32 vcc, v31, v2
	v_cndmask_b32_e32 v2, v2, v31, vcc
	v_cmp_lt_f32_e32 vcc, v32, v3
	v_cndmask_b32_e32 v3, v3, v32, vcc
	v_cmp_gt_f32_e32 vcc, v32, v2
	v_cndmask_b32_e32 v2, v2, v32, vcc
	v_cmp_lt_f32_e32 vcc, v33, v3
	v_cndmask_b32_e32 v3, v3, v33, vcc
	v_cmp_gt_f32_e32 vcc, v33, v2
	v_cndmask_b32_e32 v2, v2, v33, vcc
	;; [unrolled: 33-line block ×3, first 2 shown]
	v_sub_f32_e32 v2, v2, v6
	v_div_scale_f32 v3, s[0:1], s2, s2, v2
	v_rcp_f32_e32 v4, v3
	v_mul_lo_u32 v8, v42, 24
	v_add_u32_e32 v29, v8, v29
	s_mov_b32 s4, 0x4020c0c
	v_fma_f32 v5, -v3, v4, 1.0
	v_fmac_f32_e32 v4, v5, v4
	v_div_scale_f32 v5, vcc, v2, s2, v2
	v_mul_f32_e32 v7, v5, v4
	v_fma_f32 v9, -v3, v7, v5
	v_fmac_f32_e32 v7, v9, v4
	v_fma_f32 v3, -v3, v7, v5
	v_div_fmas_f32 v3, v3, v4, v7
	v_div_fixup_f32 v4, v3, s2, v2
	v_div_scale_f32 v5, s[0:1], v4, v4, 1.0
	v_rcp_f32_e32 v7, v5
	v_mad_u64_u32 v[2:3], s[0:1], v0, 24, v[28:29]
	v_mul_lo_u32 v0, v0, 24
	v_fma_f32 v9, -v5, v7, 1.0
	v_fmac_f32_e32 v7, v9, v7
	v_div_scale_f32 v9, vcc, 1.0, v4, 1.0
	v_mul_f32_e32 v10, v9, v7
	v_fma_f32 v11, -v5, v10, v9
	v_fmac_f32_e32 v10, v11, v7
	v_fma_f32 v5, -v5, v10, v9
	v_div_fmas_f32 v5, v5, v7, v10
	v_cvt_f16_f32_e32 v9, v4
	v_cvt_f16_f32_e32 v10, v6
	v_div_fixup_f32 v5, v5, v4, 1.0
	v_cmp_neq_f32_e32 vcc, 0, v4
	v_cndmask_b32_e32 v7, 0, v5, vcc
	v_pack_b32_f16 v4, v9, v10
	global_store_dword v[2:3], v4, off
	v_mad_u64_u32 v[4:5], s[0:1], v43, 24, v[0:1]
	v_add_u32_e32 v5, v8, v5
	v_mov_b32_e32 v8, s7
	v_add_co_u32_e32 v0, vcc, s6, v4
	v_addc_co_u32_e32 v8, vcc, v8, v5, vcc
	v_add_co_u32_e32 v4, vcc, v22, v24
	v_addc_co_u32_e32 v5, vcc, v23, v25, vcc
	;; [unrolled: 2-line block ×4, first 2 shown]
	v_mov_b32_e32 v9, s37
	v_add_co_u32_e32 v4, vcc, s36, v4
	v_addc_co_u32_e32 v5, vcc, v5, v9, vcc
	v_add_co_u32_e32 v4, vcc, 64, v4
	v_addc_co_u32_e32 v5, vcc, 0, v5, vcc
	s_mov_b64 s[0:1], 0
	v_mov_b32_e32 v9, 15
	v_mov_b32_e32 v11, 0
	;; [unrolled: 1-line block ×4, first 2 shown]
.LBB15_2:                               ; =>This Inner Loop Header: Depth=1
	s_or_b32 s2, s0, 17
	global_load_dwordx2 v[14:15], v[4:5], off offset:-64
	global_load_dword v20, v[4:5], off
	s_lshl_b64 s[6:7], s[2:3], 2
	v_mov_b32_e32 v13, s7
	v_add_co_u32_e32 v16, vcc, s6, v18
	v_addc_co_u32_e32 v17, vcc, v19, v13, vcc
	global_load_dword v16, v[16:17], off
	v_lshlrev_b32_e32 v17, 16, v12
	v_lshlrev_b32_e32 v11, 8, v11
	v_and_b32_e32 v1, 0xff, v1
	v_perm_b32 v10, v10, v17, s4
	v_and_b32_e32 v11, 0xff00, v11
	v_or3_b32 v1, v10, v11, v1
	s_add_i32 s5, s0, 16
	v_add_co_u32_e32 v4, vcc, 8, v4
	s_add_i32 s6, s0, 1
	v_addc_co_u32_e32 v5, vcc, 0, v5, vcc
	v_mov_b32_e32 v13, s1
	v_add_co_u32_e32 v12, vcc, s0, v0
	v_addc_co_u32_e32 v13, vcc, v8, v13, vcc
	s_waitcnt vmcnt(2)
	v_sub_f32_e32 v10, v14, v6
	s_waitcnt vmcnt(1)
	v_sub_f32_e32 v11, v20, v6
	v_sub_f32_e32 v14, v15, v6
	v_fma_f32 v10, v7, v10, 0.5
	v_fma_f32 v11, v7, v11, 0.5
	;; [unrolled: 1-line block ×3, first 2 shown]
	v_cvt_i32_f32_e32 v10, v10
	v_cvt_i32_f32_e32 v11, v11
	;; [unrolled: 1-line block ×3, first 2 shown]
	s_waitcnt vmcnt(0)
	v_sub_f32_e32 v15, v16, v6
	v_fma_f32 v15, v7, v15, 0.5
	v_cvt_i32_f32_e32 v15, v15
	v_and_b32_e32 v16, 15, v10
	v_lshlrev_b16_e32 v17, 4, v11
	v_lshrrev_b16_e32 v10, 4, v10
	v_lshrrev_b16_e32 v11, 4, v11
	v_and_b32_sdwa v20, v14, v9 dst_sel:BYTE_1 dst_unused:UNUSED_PAD src0_sel:DWORD src1_sel:DWORD
	v_lshrrev_b16_e32 v14, 4, v14
	v_and_b32_e32 v10, 1, v10
	v_and_b32_e32 v11, 1, v11
	;; [unrolled: 1-line block ×3, first 2 shown]
	v_lshlrev_b32_sdwa v10, s0, v10 dst_sel:DWORD dst_unused:UNUSED_PAD src0_sel:DWORD src1_sel:WORD_0
	v_lshlrev_b32_sdwa v11, s5, v11 dst_sel:DWORD dst_unused:UNUSED_PAD src0_sel:DWORD src1_sel:WORD_0
	v_and_b32_e32 v14, 0xffff, v14
	v_or3_b32 v1, v10, v1, v11
	v_lshlrev_b16_e32 v10, 12, v15
	v_lshrrev_b16_e32 v11, 4, v15
	v_or_b32_e32 v16, v17, v16
	v_lshl_or_b32 v1, v14, s6, v1
	v_or_b32_e32 v10, v10, v20
	v_and_b32_e32 v14, 1, v11
	s_add_u32 s0, s0, 2
	v_or_b32_sdwa v10, v16, v10 dst_sel:DWORD dst_unused:UNUSED_PAD src0_sel:BYTE_0 src1_sel:DWORD
	v_and_b32_e32 v14, 0xffff, v14
	s_addc_u32 s1, s1, 0
	global_store_short v[12:13], v10, off offset:8
	v_lshl_or_b32 v10, v14, s2, v1
	s_cmp_lg_u32 s0, 16
	v_lshrrev_b32_e32 v11, 8, v1
	v_lshrrev_b32_e32 v12, 16, v10
	;; [unrolled: 1-line block ×3, first 2 shown]
	s_cbranch_scc1 .LBB15_2
; %bb.3:
	v_lshlrev_b16_e32 v0, 8, v11
	v_or_b32_sdwa v0, v1, v0 dst_sel:DWORD dst_unused:UNUSED_PAD src0_sel:BYTE_0 src1_sel:DWORD
	v_lshlrev_b16_e32 v1, 8, v10
	v_or_b32_sdwa v1, v12, v1 dst_sel:WORD_1 dst_unused:UNUSED_PAD src0_sel:BYTE_0 src1_sel:DWORD
	v_or_b32_sdwa v0, v0, v1 dst_sel:DWORD dst_unused:UNUSED_PAD src0_sel:WORD_0 src1_sel:DWORD
	global_store_dword v[2:3], v0, off offset:4
.LBB15_4:
	s_endpgm
	.section	.rodata,"a",@progbits
	.p2align	6, 0x0
	.amdhsa_kernel _ZL16k_set_rows_quantIi10block_q5_1Li32ETnPFvPKfPT0_EXadL_ZL23quantize_f32_q5_1_blockS2_PS0_EEEvS2_PKT_S4_llllllllllllll15HIP_vector_typeIjLj3EESC_SC_SC_SC_
		.amdhsa_group_segment_fixed_size 0
		.amdhsa_private_segment_fixed_size 0
		.amdhsa_kernarg_size 456
		.amdhsa_user_sgpr_count 6
		.amdhsa_user_sgpr_private_segment_buffer 1
		.amdhsa_user_sgpr_dispatch_ptr 0
		.amdhsa_user_sgpr_queue_ptr 0
		.amdhsa_user_sgpr_kernarg_segment_ptr 1
		.amdhsa_user_sgpr_dispatch_id 0
		.amdhsa_user_sgpr_flat_scratch_init 0
		.amdhsa_user_sgpr_kernarg_preload_length 0
		.amdhsa_user_sgpr_kernarg_preload_offset 0
		.amdhsa_user_sgpr_private_segment_size 0
		.amdhsa_uses_dynamic_stack 0
		.amdhsa_system_sgpr_private_segment_wavefront_offset 0
		.amdhsa_system_sgpr_workgroup_id_x 1
		.amdhsa_system_sgpr_workgroup_id_y 0
		.amdhsa_system_sgpr_workgroup_id_z 0
		.amdhsa_system_sgpr_workgroup_info 0
		.amdhsa_system_vgpr_workitem_id 0
		.amdhsa_next_free_vgpr 46
		.amdhsa_next_free_sgpr 40
		.amdhsa_accum_offset 48
		.amdhsa_reserve_vcc 1
		.amdhsa_reserve_flat_scratch 0
		.amdhsa_float_round_mode_32 0
		.amdhsa_float_round_mode_16_64 0
		.amdhsa_float_denorm_mode_32 3
		.amdhsa_float_denorm_mode_16_64 3
		.amdhsa_dx10_clamp 1
		.amdhsa_ieee_mode 1
		.amdhsa_fp16_overflow 0
		.amdhsa_tg_split 0
		.amdhsa_exception_fp_ieee_invalid_op 0
		.amdhsa_exception_fp_denorm_src 0
		.amdhsa_exception_fp_ieee_div_zero 0
		.amdhsa_exception_fp_ieee_overflow 0
		.amdhsa_exception_fp_ieee_underflow 0
		.amdhsa_exception_fp_ieee_inexact 0
		.amdhsa_exception_int_div_zero 0
	.end_amdhsa_kernel
	.section	.text._ZL16k_set_rows_quantIi10block_q5_1Li32ETnPFvPKfPT0_EXadL_ZL23quantize_f32_q5_1_blockS2_PS0_EEEvS2_PKT_S4_llllllllllllll15HIP_vector_typeIjLj3EESC_SC_SC_SC_,"axG",@progbits,_ZL16k_set_rows_quantIi10block_q5_1Li32ETnPFvPKfPT0_EXadL_ZL23quantize_f32_q5_1_blockS2_PS0_EEEvS2_PKT_S4_llllllllllllll15HIP_vector_typeIjLj3EESC_SC_SC_SC_,comdat
.Lfunc_end15:
	.size	_ZL16k_set_rows_quantIi10block_q5_1Li32ETnPFvPKfPT0_EXadL_ZL23quantize_f32_q5_1_blockS2_PS0_EEEvS2_PKT_S4_llllllllllllll15HIP_vector_typeIjLj3EESC_SC_SC_SC_, .Lfunc_end15-_ZL16k_set_rows_quantIi10block_q5_1Li32ETnPFvPKfPT0_EXadL_ZL23quantize_f32_q5_1_blockS2_PS0_EEEvS2_PKT_S4_llllllllllllll15HIP_vector_typeIjLj3EESC_SC_SC_SC_
                                        ; -- End function
	.section	.AMDGPU.csdata,"",@progbits
; Kernel info:
; codeLenInByte = 2248
; NumSgprs: 44
; NumVgprs: 46
; NumAgprs: 0
; TotalNumVgprs: 46
; ScratchSize: 0
; MemoryBound: 0
; FloatMode: 240
; IeeeMode: 1
; LDSByteSize: 0 bytes/workgroup (compile time only)
; SGPRBlocks: 5
; VGPRBlocks: 5
; NumSGPRsForWavesPerEU: 44
; NumVGPRsForWavesPerEU: 46
; AccumOffset: 48
; Occupancy: 8
; WaveLimiterHint : 1
; COMPUTE_PGM_RSRC2:SCRATCH_EN: 0
; COMPUTE_PGM_RSRC2:USER_SGPR: 6
; COMPUTE_PGM_RSRC2:TRAP_HANDLER: 0
; COMPUTE_PGM_RSRC2:TGID_X_EN: 1
; COMPUTE_PGM_RSRC2:TGID_Y_EN: 0
; COMPUTE_PGM_RSRC2:TGID_Z_EN: 0
; COMPUTE_PGM_RSRC2:TIDIG_COMP_CNT: 0
; COMPUTE_PGM_RSRC3_GFX90A:ACCUM_OFFSET: 11
; COMPUTE_PGM_RSRC3_GFX90A:TG_SPLIT: 0
	.section	.text._ZL16k_set_rows_quantIi10block_q8_0Li32ETnPFvPKfPT0_EXadL_ZL23quantize_f32_q8_0_blockS2_PS0_EEEvS2_PKT_S4_llllllllllllll15HIP_vector_typeIjLj3EESC_SC_SC_SC_,"axG",@progbits,_ZL16k_set_rows_quantIi10block_q8_0Li32ETnPFvPKfPT0_EXadL_ZL23quantize_f32_q8_0_blockS2_PS0_EEEvS2_PKT_S4_llllllllllllll15HIP_vector_typeIjLj3EESC_SC_SC_SC_,comdat
	.globl	_ZL16k_set_rows_quantIi10block_q8_0Li32ETnPFvPKfPT0_EXadL_ZL23quantize_f32_q8_0_blockS2_PS0_EEEvS2_PKT_S4_llllllllllllll15HIP_vector_typeIjLj3EESC_SC_SC_SC_ ; -- Begin function _ZL16k_set_rows_quantIi10block_q8_0Li32ETnPFvPKfPT0_EXadL_ZL23quantize_f32_q8_0_blockS2_PS0_EEEvS2_PKT_S4_llllllllllllll15HIP_vector_typeIjLj3EESC_SC_SC_SC_
	.p2align	8
	.type	_ZL16k_set_rows_quantIi10block_q8_0Li32ETnPFvPKfPT0_EXadL_ZL23quantize_f32_q8_0_blockS2_PS0_EEEvS2_PKT_S4_llllllllllllll15HIP_vector_typeIjLj3EESC_SC_SC_SC_,@function
_ZL16k_set_rows_quantIi10block_q8_0Li32ETnPFvPKfPT0_EXadL_ZL23quantize_f32_q8_0_blockS2_PS0_EEEvS2_PKT_S4_llllllllllllll15HIP_vector_typeIjLj3EESC_SC_SC_SC_: ; @_ZL16k_set_rows_quantIi10block_q8_0Li32ETnPFvPKfPT0_EXadL_ZL23quantize_f32_q8_0_blockS2_PS0_EEEvS2_PKT_S4_llllllllllllll15HIP_vector_typeIjLj3EESC_SC_SC_SC_
; %bb.0:
	s_load_dword s2, s[4:5], 0xd4
	s_load_dwordx2 s[0:1], s[4:5], 0x18
	v_mov_b32_e32 v1, 0
	v_mov_b32_e32 v2, s6
	s_waitcnt lgkmcnt(0)
	s_and_b32 s2, s2, 0xffff
	v_mad_u64_u32 v[2:3], s[2:3], s2, v2, v[0:1]
	v_cmp_gt_i64_e32 vcc, s[0:1], v[2:3]
	s_and_saveexec_b64 s[0:1], vcc
	s_cbranch_execz .LBB16_2
; %bb.1:
	s_load_dwordx4 s[0:3], s[4:5], 0x0
	s_load_dwordx2 s[6:7], s[4:5], 0x10
	s_load_dwordx16 s[8:23], s[4:5], 0x40
	s_load_dwordx8 s[24:31], s[4:5], 0x88
	s_load_dword s33, s[4:5], 0xc0
	s_load_dwordx2 s[34:35], s[4:5], 0xb8
	s_load_dwordx4 s[36:39], s[4:5], 0xa8
	v_lshlrev_b32_e32 v6, 5, v2
	s_waitcnt lgkmcnt(0)
	v_mul_hi_u32 v0, s24, v6
	v_add_u32_e32 v0, v6, v0
	v_lshrrev_b32_e32 v7, s25, v0
	v_mul_hi_u32 v0, v7, s27
	v_add_u32_e32 v0, v7, v0
	v_lshrrev_b32_e32 v0, s28, v0
	v_mul_lo_u32 v2, v0, s29
	v_sub_u32_e32 v8, v7, v2
	v_mul_hi_u32 v2, v0, s30
	v_add_u32_e32 v2, v0, v2
	v_lshrrev_b32_e32 v11, s31, v2
	v_mul_lo_u32 v2, v11, s36
	v_sub_u32_e32 v12, v0, v2
	;; [unrolled: 5-line block ×3, first 2 shown]
	v_mul_hi_u32 v0, v12, s37
	v_add_u32_e32 v0, v12, v0
	v_lshrrev_b32_e32 v0, s38, v0
	v_mul_lo_u32 v0, v0, s39
	v_mad_u64_u32 v[2:3], s[24:25], v8, s14, 0
	v_sub_u32_e32 v10, v12, v0
	v_mov_b32_e32 v0, v3
	v_mad_u64_u32 v[4:5], s[14:15], v8, s15, v[0:1]
	v_mov_b32_e32 v3, v4
	v_lshlrev_b64 v[2:3], 2, v[2:3]
	v_mov_b32_e32 v0, s3
	v_add_co_u32_e32 v13, vcc, s2, v2
	v_addc_co_u32_e32 v14, vcc, v0, v3, vcc
	v_mad_u64_u32 v[2:3], s[2:3], v10, s16, 0
	v_mov_b32_e32 v0, v3
	v_mad_u64_u32 v[4:5], s[2:3], v10, s17, v[0:1]
	v_mov_b32_e32 v3, v4
	v_lshlrev_b64 v[2:3], 2, v[2:3]
	v_add_co_u32_e32 v10, vcc, v13, v2
	v_addc_co_u32_e32 v13, vcc, v14, v3, vcc
	v_mad_u64_u32 v[2:3], s[2:3], v9, s18, 0
	v_mov_b32_e32 v0, v3
	v_mad_u64_u32 v[4:5], s[2:3], v9, s19, v[0:1]
	v_mov_b32_e32 v3, v4
	v_lshlrev_b64 v[2:3], 2, v[2:3]
	v_add_co_u32_e32 v2, vcc, v10, v2
	v_addc_co_u32_e32 v3, vcc, v13, v3, vcc
	global_load_dword v13, v[2:3], off
	s_load_dwordx2 s[2:3], s[4:5], 0x80
	v_mad_u64_u32 v[2:3], s[4:5], v8, s8, 0
	v_mul_lo_u32 v0, v7, s26
	v_mov_b32_e32 v4, v3
	v_sub_u32_e32 v0, v6, v0
	v_mad_u64_u32 v[6:7], s[4:5], v11, s12, 0
	v_mad_u64_u32 v[4:5], s[4:5], v8, s9, v[4:5]
	v_mov_b32_e32 v8, v7
	v_mov_b32_e32 v3, v4
	v_mad_u64_u32 v[4:5], s[4:5], v12, s10, 0
	v_mad_u64_u32 v[8:9], s[4:5], v11, s13, v[8:9]
	v_lshlrev_b64 v[2:3], 2, v[2:3]
	v_mov_b32_e32 v14, s1
	v_mov_b32_e32 v10, v5
	;; [unrolled: 1-line block ×3, first 2 shown]
	v_add_co_u32_e32 v8, vcc, s0, v2
	v_addc_co_u32_e32 v9, vcc, v14, v3, vcc
	v_mad_u64_u32 v[2:3], s[0:1], v12, s11, v[10:11]
	v_mov_b32_e32 v5, v2
	v_lshlrev_b64 v[2:3], 2, v[4:5]
	v_add_co_u32_e32 v2, vcc, v8, v2
	v_lshlrev_b64 v[6:7], 2, v[6:7]
	v_addc_co_u32_e32 v3, vcc, v9, v3, vcc
	v_add_co_u32_e32 v6, vcc, v2, v6
	v_addc_co_u32_e32 v7, vcc, v3, v7, vcc
	s_waitcnt vmcnt(0)
	v_ashrrev_i32_e32 v4, 31, v13
	v_mul_lo_u32 v5, v13, s21
	v_mad_u64_u32 v[2:3], s[0:1], v13, s20, 0
	v_mul_lo_u32 v4, v4, s20
	v_add3_u32 v3, v3, v5, v4
	s_waitcnt lgkmcnt(0)
	v_mad_u64_u32 v[2:3], s[0:1], v11, s2, v[2:3]
	v_mov_b32_e32 v4, v3
	v_mad_u64_u32 v[4:5], s[0:1], v11, s3, v[4:5]
	v_mov_b32_e32 v3, v4
	;; [unrolled: 2-line block ×3, first 2 shown]
	v_mad_u64_u32 v[36:37], s[0:1], v12, s23, v[2:3]
	v_lshlrev_b64 v[2:3], 2, v[0:1]
	v_add_co_u32_e32 v38, vcc, v6, v2
	v_addc_co_u32_e32 v39, vcc, v7, v3, vcc
	global_load_dwordx4 v[30:33], v[38:39], off offset:16
	global_load_dwordx4 v[26:29], v[38:39], off
	global_load_dwordx4 v[22:25], v[38:39], off offset:48
	global_load_dwordx4 v[18:21], v[38:39], off offset:32
	;; [unrolled: 1-line block ×6, first 2 shown]
	s_add_u32 s0, 0, 0x87870380
	s_addc_u32 s1, 0, 31
	s_add_i32 s1, s1, 0x7878768
	s_mul_hi_u32 s5, s0, 0xffffffde
	s_sub_i32 s5, s5, s0
	s_mul_i32 s8, s1, 0xffffffde
	s_mul_i32 s2, s0, 0xffffffde
	s_add_i32 s5, s5, s8
	s_mul_hi_u32 s3, s1, s2
	s_mul_i32 s4, s1, s2
	s_mul_i32 s9, s0, s5
	s_mul_hi_u32 s2, s0, s2
	s_mul_hi_u32 s8, s0, s5
	s_add_u32 s2, s2, s9
	s_addc_u32 s8, 0, s8
	s_add_u32 s2, s2, s4
	s_mul_hi_u32 s9, s1, s5
	s_addc_u32 s2, s8, s3
	s_addc_u32 s3, s9, 0
	s_mul_i32 s4, s1, s5
	s_add_u32 s2, s2, s4
	v_mov_b32_e32 v1, s2
	s_addc_u32 s3, 0, s3
	v_add_co_u32_e32 v1, vcc, s0, v1
	s_cmp_lg_u64 vcc, 0
	s_addc_u32 s2, s1, s3
	v_mad_u64_u32 v[38:39], s[0:1], v34, s2, 0
	v_mul_hi_u32 v35, v34, v1
	v_add_co_u32_e32 v35, vcc, v35, v38
	v_addc_co_u32_e32 v37, vcc, 0, v39, vcc
	v_mad_u64_u32 v[38:39], s[0:1], v36, v1, 0
	v_add_co_u32_e32 v1, vcc, v35, v38
	v_mad_u64_u32 v[40:41], s[0:1], v36, s2, 0
	v_addc_co_u32_e32 v1, vcc, v37, v39, vcc
	v_addc_co_u32_e32 v35, vcc, 0, v41, vcc
	v_add_co_u32_e32 v1, vcc, v1, v40
	v_mad_u64_u32 v[38:39], s[0:1], v1, 34, 0
	v_addc_co_u32_e32 v35, vcc, 0, v35, vcc
	v_mov_b32_e32 v40, v39
	v_mad_u64_u32 v[40:41], s[0:1], v35, 34, v[40:41]
	v_sub_co_u32_e32 v34, vcc, v34, v38
	v_subb_co_u32_e32 v36, vcc, v36, v40, vcc
	v_subrev_co_u32_e32 v37, vcc, 34, v34
	v_subbrev_co_u32_e32 v38, vcc, 0, v36, vcc
	v_cmp_lt_u32_e32 vcc, 33, v37
	v_cndmask_b32_e64 v37, 0, -1, vcc
	v_cmp_eq_u32_e32 vcc, 0, v38
	v_cndmask_b32_e32 v37, -1, v37, vcc
	v_add_co_u32_e32 v38, vcc, 2, v1
	v_addc_co_u32_e32 v39, vcc, 0, v35, vcc
	v_add_co_u32_e32 v40, vcc, 1, v1
	v_cmp_lt_u32_e64 s[0:1], 33, v34
	v_addc_co_u32_e32 v41, vcc, 0, v35, vcc
	v_cndmask_b32_e64 v34, 0, -1, s[0:1]
	v_cmp_eq_u32_e64 s[0:1], 0, v36
	v_cmp_ne_u32_e32 vcc, 0, v37
	v_cndmask_b32_e64 v34, -1, v34, s[0:1]
	v_cmp_ne_u32_e64 s[0:1], 0, v34
	v_cndmask_b32_e32 v34, v40, v38, vcc
	v_cndmask_b32_e32 v37, v41, v39, vcc
	v_cndmask_b32_e64 v1, v1, v34, s[0:1]
	v_cndmask_b32_e64 v37, v35, v37, s[0:1]
	v_mad_u64_u32 v[34:35], s[0:1], v1, 34, s[6:7]
	s_waitcnt vmcnt(6)
	v_max3_f32 v1, |v26|, 0, |v27|
	v_max3_f32 v1, v1, |v28|, |v29|
	v_max3_f32 v1, v1, |v30|, |v31|
	v_max3_f32 v1, v1, |v32|, |v33|
	s_waitcnt vmcnt(4)
	v_max3_f32 v1, v1, |v18|, |v19|
	v_max3_f32 v1, v1, |v20|, |v21|
	v_max3_f32 v1, v1, |v22|, |v23|
	v_max3_f32 v1, v1, |v24|, |v25|
	s_waitcnt vmcnt(2)
	v_max3_f32 v1, v1, |v10|, |v11|
	;; [unrolled: 5-line block ×3, first 2 shown]
	v_max3_f32 v1, v1, |v4|, |v5|
	v_max3_f32 v1, v1, |v6|, |v7|
	;; [unrolled: 1-line block ×3, first 2 shown]
	s_mov_b32 s2, 0x42fe0000
	v_div_scale_f32 v38, s[0:1], s2, s2, v1
	v_rcp_f32_e32 v39, v38
	v_mov_b32_e32 v36, v35
	v_mad_u64_u32 v[36:37], s[0:1], v37, 34, v[36:37]
	v_mov_b32_e32 v35, v36
	v_fma_f32 v36, -v38, v39, 1.0
	v_fmac_f32_e32 v39, v36, v39
	v_div_scale_f32 v36, vcc, v1, s2, v1
	v_mul_f32_e32 v37, v36, v39
	v_fma_f32 v40, -v38, v37, v36
	v_fmac_f32_e32 v37, v40, v39
	v_fma_f32 v36, -v38, v37, v36
	v_div_fmas_f32 v36, v36, v39, v37
	v_div_fixup_f32 v36, v36, s2, v1
	v_div_scale_f32 v37, s[0:1], v36, v36, 1.0
	v_rcp_f32_e32 v38, v37
	v_lshrrev_b32_e32 v0, 5, v0
	v_mad_u64_u32 v[0:1], s[0:1], v0, 34, v[34:35]
	v_fma_f32 v34, -v37, v38, 1.0
	v_fmac_f32_e32 v38, v34, v38
	v_div_scale_f32 v34, vcc, 1.0, v36, 1.0
	v_mul_f32_e32 v35, v34, v38
	v_fma_f32 v39, -v37, v35, v34
	v_fmac_f32_e32 v35, v39, v38
	v_fma_f32 v34, -v37, v35, v34
	v_div_fmas_f32 v34, v34, v38, v35
	v_cvt_f16_f32_e32 v35, v36
	v_div_fixup_f32 v34, v34, v36, 1.0
	v_cmp_neq_f32_e32 vcc, 0, v36
	v_cndmask_b32_e32 v34, 0, v34, vcc
	v_pk_mul_f32 v[28:29], v[28:29], v[34:35] op_sel_hi:[1,0]
	global_store_short v[0:1], v35, off
	v_pk_mul_f32 v[30:31], v[30:31], v[34:35] op_sel_hi:[1,0]
	v_pk_mul_f32 v[32:33], v[32:33], v[34:35] op_sel_hi:[1,0]
	;; [unrolled: 1-line block ×3, first 2 shown]
	v_trunc_f32_e32 v35, v28
	v_sub_f32_e32 v36, v28, v35
	v_cmp_ge_f32_e64 s[0:1], |v36|, 0.5
	v_cndmask_b32_e64 v36, 0, 1.0, s[0:1]
	s_brev_b32 s0, -2
	v_bfi_b32 v28, s0, v36, v28
	v_add_f32_e32 v28, v35, v28
	v_trunc_f32_e32 v35, v29
	v_sub_f32_e32 v36, v29, v35
	v_cmp_ge_f32_e64 s[2:3], |v36|, 0.5
	v_cndmask_b32_e64 v36, 0, 1.0, s[2:3]
	v_bfi_b32 v29, s0, v36, v29
	v_add_f32_e32 v29, v35, v29
	v_trunc_f32_e32 v35, v26
	v_sub_f32_e32 v36, v26, v35
	v_cmp_ge_f32_e64 s[2:3], |v36|, 0.5
	v_cndmask_b32_e64 v36, 0, 1.0, s[2:3]
	;; [unrolled: 6-line block ×3, first 2 shown]
	v_bfi_b32 v27, s0, v36, v27
	v_add_f32_e32 v27, v35, v27
	v_trunc_f32_e32 v35, v32
	v_sub_f32_e32 v36, v32, v35
	v_trunc_f32_e32 v37, v30
	v_cmp_ge_f32_e64 s[2:3], |v36|, 0.5
	v_sub_f32_e32 v38, v30, v37
	v_cndmask_b32_e64 v36, 0, 1.0, s[2:3]
	v_cmp_ge_f32_e64 s[2:3], |v38|, 0.5
	v_cndmask_b32_e64 v38, 0, 1.0, s[2:3]
	v_bfi_b32 v30, s0, v38, v30
	v_add_f32_e32 v30, v37, v30
	v_trunc_f32_e32 v37, v31
	v_sub_f32_e32 v38, v31, v37
	v_cmp_ge_f32_e64 s[2:3], |v38|, 0.5
	v_bfi_b32 v32, s0, v36, v32
	v_cndmask_b32_e64 v38, 0, 1.0, s[2:3]
	v_add_f32_e32 v32, v35, v32
	v_trunc_f32_e32 v35, v33
	v_bfi_b32 v31, s0, v38, v31
	v_sub_f32_e32 v36, v33, v35
	v_add_f32_e32 v31, v37, v31
	v_cvt_i32_f32_sdwa v31, v31 dst_sel:BYTE_1 dst_unused:UNUSED_PAD src0_sel:DWORD
	v_cvt_i32_f32_e32 v30, v30
	v_cmp_ge_f32_e64 s[2:3], |v36|, 0.5
	v_cndmask_b32_e64 v36, 0, 1.0, s[2:3]
	v_bfi_b32 v33, s0, v36, v33
	v_add_f32_e32 v33, v35, v33
	v_or_b32_sdwa v30, v30, v31 dst_sel:DWORD dst_unused:UNUSED_PAD src0_sel:BYTE_0 src1_sel:DWORD
	v_cvt_i32_f32_sdwa v31, v33 dst_sel:BYTE_1 dst_unused:UNUSED_PAD src0_sel:DWORD
	v_cvt_i32_f32_sdwa v33, v27 dst_sel:BYTE_1 dst_unused:UNUSED_PAD src0_sel:DWORD
	v_cvt_i32_f32_e32 v26, v26
	v_cvt_i32_f32_sdwa v29, v29 dst_sel:BYTE_1 dst_unused:UNUSED_PAD src0_sel:DWORD
	v_cvt_i32_f32_e32 v28, v28
	v_pk_mul_f32 v[20:21], v[20:21], v[34:35] op_sel_hi:[1,0]
	v_or_b32_sdwa v26, v26, v33 dst_sel:DWORD dst_unused:UNUSED_PAD src0_sel:BYTE_0 src1_sel:DWORD
	v_pk_mul_f32 v[18:19], v[18:19], v[34:35] op_sel_hi:[1,0]
	v_or_b32_sdwa v28, v28, v29 dst_sel:WORD_1 dst_unused:UNUSED_PAD src0_sel:BYTE_0 src1_sel:DWORD
	v_or_b32_sdwa v26, v26, v28 dst_sel:DWORD dst_unused:UNUSED_PAD src0_sel:WORD_0 src1_sel:DWORD
	v_trunc_f32_e32 v28, v20
	v_sub_f32_e32 v29, v20, v28
	v_cmp_ge_f32_e64 s[2:3], |v29|, 0.5
	v_cndmask_b32_e64 v29, 0, 1.0, s[2:3]
	v_bfi_b32 v20, s0, v29, v20
	v_add_f32_e32 v20, v28, v20
	v_trunc_f32_e32 v28, v21
	v_sub_f32_e32 v29, v21, v28
	v_cmp_ge_f32_e64 s[2:3], |v29|, 0.5
	v_cndmask_b32_e64 v29, 0, 1.0, s[2:3]
	v_bfi_b32 v21, s0, v29, v21
	v_add_f32_e32 v21, v28, v21
	;; [unrolled: 6-line block ×3, first 2 shown]
	v_trunc_f32_e32 v28, v19
	v_cvt_i32_f32_e32 v32, v32
	v_sub_f32_e32 v29, v19, v28
	v_cmp_ge_f32_e64 s[2:3], |v29|, 0.5
	v_cndmask_b32_e64 v29, 0, 1.0, s[2:3]
	v_pk_mul_f32 v[24:25], v[24:25], v[34:35] op_sel_hi:[1,0]
	v_bfi_b32 v19, s0, v29, v19
	v_or_b32_sdwa v27, v32, v31 dst_sel:WORD_1 dst_unused:UNUSED_PAD src0_sel:BYTE_0 src1_sel:DWORD
	v_pk_mul_f32 v[22:23], v[22:23], v[34:35] op_sel_hi:[1,0]
	v_add_f32_e32 v19, v28, v19
	v_trunc_f32_e32 v28, v24
	v_or_b32_sdwa v27, v30, v27 dst_sel:DWORD dst_unused:UNUSED_PAD src0_sel:WORD_0 src1_sel:DWORD
	v_sub_f32_e32 v29, v24, v28
	v_trunc_f32_e32 v30, v22
	v_cmp_ge_f32_e64 s[2:3], |v29|, 0.5
	v_sub_f32_e32 v31, v22, v30
	v_cndmask_b32_e64 v29, 0, 1.0, s[2:3]
	v_cmp_ge_f32_e64 s[2:3], |v31|, 0.5
	v_cndmask_b32_e64 v31, 0, 1.0, s[2:3]
	v_bfi_b32 v22, s0, v31, v22
	v_bfi_b32 v24, s0, v29, v24
	v_add_f32_e32 v22, v30, v22
	v_trunc_f32_e32 v30, v23
	v_add_f32_e32 v24, v28, v24
	v_trunc_f32_e32 v28, v25
	v_sub_f32_e32 v31, v23, v30
	v_cvt_i32_f32_sdwa v19, v19 dst_sel:BYTE_1 dst_unused:UNUSED_PAD src0_sel:DWORD
	v_cvt_i32_f32_e32 v18, v18
	v_cvt_i32_f32_sdwa v21, v21 dst_sel:BYTE_1 dst_unused:UNUSED_PAD src0_sel:DWORD
	v_cvt_i32_f32_e32 v20, v20
	v_sub_f32_e32 v29, v25, v28
	v_cmp_ge_f32_e64 s[2:3], |v31|, 0.5
	v_cndmask_b32_e64 v31, 0, 1.0, s[2:3]
	v_cmp_ge_f32_e64 s[2:3], |v29|, 0.5
	v_cndmask_b32_e64 v29, 0, 1.0, s[2:3]
	v_bfi_b32 v25, s0, v29, v25
	v_or_b32_sdwa v18, v18, v19 dst_sel:DWORD dst_unused:UNUSED_PAD src0_sel:BYTE_0 src1_sel:DWORD
	v_or_b32_sdwa v19, v20, v21 dst_sel:WORD_1 dst_unused:UNUSED_PAD src0_sel:BYTE_0 src1_sel:DWORD
	v_pk_mul_f32 v[12:13], v[12:13], v[34:35] op_sel_hi:[1,0]
	v_add_f32_e32 v25, v28, v25
	v_or_b32_sdwa v28, v18, v19 dst_sel:DWORD dst_unused:UNUSED_PAD src0_sel:WORD_0 src1_sel:DWORD
	v_trunc_f32_e32 v18, v12
	v_sub_f32_e32 v19, v12, v18
	v_cmp_ge_f32_e64 s[2:3], |v19|, 0.5
	v_cndmask_b32_e64 v19, 0, 1.0, s[2:3]
	v_bfi_b32 v12, s0, v19, v12
	v_add_f32_e32 v12, v18, v12
	v_trunc_f32_e32 v18, v13
	v_sub_f32_e32 v19, v13, v18
	v_cmp_ge_f32_e64 s[2:3], |v19|, 0.5
	v_cndmask_b32_e64 v19, 0, 1.0, s[2:3]
	v_pk_mul_f32 v[10:11], v[10:11], v[34:35] op_sel_hi:[1,0]
	v_bfi_b32 v13, s0, v19, v13
	v_add_f32_e32 v13, v18, v13
	v_trunc_f32_e32 v18, v10
	v_sub_f32_e32 v19, v10, v18
	v_cmp_ge_f32_e64 s[2:3], |v19|, 0.5
	v_cndmask_b32_e64 v19, 0, 1.0, s[2:3]
	v_bfi_b32 v10, s0, v19, v10
	v_add_f32_e32 v10, v18, v10
	v_trunc_f32_e32 v18, v11
	v_sub_f32_e32 v19, v11, v18
	v_cmp_ge_f32_e64 s[2:3], |v19|, 0.5
	v_cndmask_b32_e64 v19, 0, 1.0, s[2:3]
	v_pk_mul_f32 v[16:17], v[16:17], v[34:35] op_sel_hi:[1,0]
	v_bfi_b32 v11, s0, v19, v11
	v_pk_mul_f32 v[14:15], v[14:15], v[34:35] op_sel_hi:[1,0]
	v_add_f32_e32 v11, v18, v11
	v_trunc_f32_e32 v18, v16
	v_sub_f32_e32 v19, v16, v18
	v_trunc_f32_e32 v20, v14
	v_cmp_ge_f32_e64 s[2:3], |v19|, 0.5
	v_sub_f32_e32 v21, v14, v20
	v_cndmask_b32_e64 v19, 0, 1.0, s[2:3]
	v_cmp_ge_f32_e64 s[2:3], |v21|, 0.5
	v_cndmask_b32_e64 v21, 0, 1.0, s[2:3]
	v_bfi_b32 v14, s0, v21, v14
	v_add_f32_e32 v14, v20, v14
	v_trunc_f32_e32 v20, v15
	v_sub_f32_e32 v21, v15, v20
	v_cmp_ge_f32_e64 s[2:3], |v21|, 0.5
	v_bfi_b32 v16, s0, v19, v16
	v_cndmask_b32_e64 v21, 0, 1.0, s[2:3]
	v_add_f32_e32 v16, v18, v16
	v_trunc_f32_e32 v18, v17
	v_bfi_b32 v15, s0, v21, v15
	v_sub_f32_e32 v19, v17, v18
	v_add_f32_e32 v15, v20, v15
	v_cvt_i32_f32_sdwa v15, v15 dst_sel:BYTE_1 dst_unused:UNUSED_PAD src0_sel:DWORD
	v_cvt_i32_f32_e32 v14, v14
	v_cmp_ge_f32_e64 s[2:3], |v19|, 0.5
	v_cndmask_b32_e64 v19, 0, 1.0, s[2:3]
	v_bfi_b32 v17, s0, v19, v17
	v_add_f32_e32 v17, v18, v17
	v_or_b32_sdwa v14, v14, v15 dst_sel:DWORD dst_unused:UNUSED_PAD src0_sel:BYTE_0 src1_sel:DWORD
	v_cvt_i32_f32_sdwa v15, v17 dst_sel:BYTE_1 dst_unused:UNUSED_PAD src0_sel:DWORD
	v_cvt_i32_f32_sdwa v17, v11 dst_sel:BYTE_1 dst_unused:UNUSED_PAD src0_sel:DWORD
	v_cvt_i32_f32_e32 v10, v10
	v_cvt_i32_f32_sdwa v13, v13 dst_sel:BYTE_1 dst_unused:UNUSED_PAD src0_sel:DWORD
	v_cvt_i32_f32_e32 v12, v12
	v_pk_mul_f32 v[4:5], v[4:5], v[34:35] op_sel_hi:[1,0]
	v_or_b32_sdwa v10, v10, v17 dst_sel:DWORD dst_unused:UNUSED_PAD src0_sel:BYTE_0 src1_sel:DWORD
	v_pk_mul_f32 v[2:3], v[2:3], v[34:35] op_sel_hi:[1,0]
	v_or_b32_sdwa v12, v12, v13 dst_sel:WORD_1 dst_unused:UNUSED_PAD src0_sel:BYTE_0 src1_sel:DWORD
	v_or_b32_sdwa v10, v10, v12 dst_sel:DWORD dst_unused:UNUSED_PAD src0_sel:WORD_0 src1_sel:DWORD
	v_trunc_f32_e32 v12, v4
	v_sub_f32_e32 v13, v4, v12
	v_cmp_ge_f32_e64 s[2:3], |v13|, 0.5
	v_cndmask_b32_e64 v13, 0, 1.0, s[2:3]
	v_bfi_b32 v4, s0, v13, v4
	v_add_f32_e32 v4, v12, v4
	v_trunc_f32_e32 v12, v5
	v_sub_f32_e32 v13, v5, v12
	v_cmp_ge_f32_e64 s[2:3], |v13|, 0.5
	v_cndmask_b32_e64 v13, 0, 1.0, s[2:3]
	v_bfi_b32 v5, s0, v13, v5
	v_add_f32_e32 v5, v12, v5
	;; [unrolled: 6-line block ×3, first 2 shown]
	v_trunc_f32_e32 v12, v3
	v_cvt_i32_f32_e32 v16, v16
	v_sub_f32_e32 v13, v3, v12
	v_cmp_ge_f32_e64 s[2:3], |v13|, 0.5
	v_cndmask_b32_e64 v13, 0, 1.0, s[2:3]
	v_pk_mul_f32 v[8:9], v[8:9], v[34:35] op_sel_hi:[1,0]
	v_bfi_b32 v3, s0, v13, v3
	v_or_b32_sdwa v11, v16, v15 dst_sel:WORD_1 dst_unused:UNUSED_PAD src0_sel:BYTE_0 src1_sel:DWORD
	v_pk_mul_f32 v[6:7], v[6:7], v[34:35] op_sel_hi:[1,0]
	v_add_f32_e32 v3, v12, v3
	v_trunc_f32_e32 v12, v8
	v_or_b32_sdwa v11, v14, v11 dst_sel:DWORD dst_unused:UNUSED_PAD src0_sel:WORD_0 src1_sel:DWORD
	v_sub_f32_e32 v13, v8, v12
	v_trunc_f32_e32 v14, v6
	v_cmp_ge_f32_e64 s[2:3], |v13|, 0.5
	v_sub_f32_e32 v15, v6, v14
	v_cndmask_b32_e64 v13, 0, 1.0, s[2:3]
	v_cmp_ge_f32_e64 s[2:3], |v15|, 0.5
	v_cndmask_b32_e64 v15, 0, 1.0, s[2:3]
	v_bfi_b32 v6, s0, v15, v6
	v_add_f32_e32 v6, v14, v6
	v_trunc_f32_e32 v14, v7
	v_sub_f32_e32 v15, v7, v14
	v_cmp_ge_f32_e64 s[2:3], |v15|, 0.5
	v_bfi_b32 v8, s0, v13, v8
	v_cndmask_b32_e64 v15, 0, 1.0, s[2:3]
	v_bfi_b32 v23, s0, v31, v23
	v_add_f32_e32 v8, v12, v8
	v_trunc_f32_e32 v12, v9
	v_bfi_b32 v7, s0, v15, v7
	v_add_f32_e32 v23, v30, v23
	v_sub_f32_e32 v13, v9, v12
	v_add_f32_e32 v7, v14, v7
	v_cvt_i32_f32_sdwa v23, v23 dst_sel:BYTE_1 dst_unused:UNUSED_PAD src0_sel:DWORD
	v_cvt_i32_f32_e32 v22, v22
	v_cvt_i32_f32_sdwa v7, v7 dst_sel:BYTE_1 dst_unused:UNUSED_PAD src0_sel:DWORD
	v_cvt_i32_f32_e32 v6, v6
	v_cmp_ge_f32_e64 s[2:3], |v13|, 0.5
	v_cndmask_b32_e64 v13, 0, 1.0, s[2:3]
	v_bfi_b32 v9, s0, v13, v9
	v_add_f32_e32 v9, v12, v9
	v_or_b32_sdwa v22, v22, v23 dst_sel:DWORD dst_unused:UNUSED_PAD src0_sel:BYTE_0 src1_sel:DWORD
	v_cvt_i32_f32_sdwa v23, v25 dst_sel:BYTE_1 dst_unused:UNUSED_PAD src0_sel:DWORD
	v_cvt_i32_f32_e32 v24, v24
	v_or_b32_sdwa v6, v6, v7 dst_sel:DWORD dst_unused:UNUSED_PAD src0_sel:BYTE_0 src1_sel:DWORD
	v_cvt_i32_f32_sdwa v7, v9 dst_sel:BYTE_1 dst_unused:UNUSED_PAD src0_sel:DWORD
	v_cvt_i32_f32_e32 v8, v8
	v_cvt_i32_f32_sdwa v3, v3 dst_sel:BYTE_1 dst_unused:UNUSED_PAD src0_sel:DWORD
	v_cvt_i32_f32_e32 v2, v2
	;; [unrolled: 2-line block ×3, first 2 shown]
	v_or_b32_sdwa v23, v24, v23 dst_sel:WORD_1 dst_unused:UNUSED_PAD src0_sel:BYTE_0 src1_sel:DWORD
	v_or_b32_sdwa v7, v8, v7 dst_sel:WORD_1 dst_unused:UNUSED_PAD src0_sel:BYTE_0 src1_sel:DWORD
	v_or_b32_sdwa v2, v2, v3 dst_sel:DWORD dst_unused:UNUSED_PAD src0_sel:BYTE_0 src1_sel:DWORD
	v_or_b32_sdwa v3, v4, v5 dst_sel:WORD_1 dst_unused:UNUSED_PAD src0_sel:BYTE_0 src1_sel:DWORD
	v_or_b32_sdwa v29, v22, v23 dst_sel:DWORD dst_unused:UNUSED_PAD src0_sel:WORD_0 src1_sel:DWORD
	v_or_b32_sdwa v13, v6, v7 dst_sel:DWORD dst_unused:UNUSED_PAD src0_sel:WORD_0 src1_sel:DWORD
	;; [unrolled: 1-line block ×3, first 2 shown]
	global_store_dwordx4 v[0:1], v[26:29], off offset:2
	global_store_dwordx4 v[0:1], v[10:13], off offset:18
.LBB16_2:
	s_endpgm
	.section	.rodata,"a",@progbits
	.p2align	6, 0x0
	.amdhsa_kernel _ZL16k_set_rows_quantIi10block_q8_0Li32ETnPFvPKfPT0_EXadL_ZL23quantize_f32_q8_0_blockS2_PS0_EEEvS2_PKT_S4_llllllllllllll15HIP_vector_typeIjLj3EESC_SC_SC_SC_
		.amdhsa_group_segment_fixed_size 0
		.amdhsa_private_segment_fixed_size 0
		.amdhsa_kernarg_size 456
		.amdhsa_user_sgpr_count 6
		.amdhsa_user_sgpr_private_segment_buffer 1
		.amdhsa_user_sgpr_dispatch_ptr 0
		.amdhsa_user_sgpr_queue_ptr 0
		.amdhsa_user_sgpr_kernarg_segment_ptr 1
		.amdhsa_user_sgpr_dispatch_id 0
		.amdhsa_user_sgpr_flat_scratch_init 0
		.amdhsa_user_sgpr_kernarg_preload_length 0
		.amdhsa_user_sgpr_kernarg_preload_offset 0
		.amdhsa_user_sgpr_private_segment_size 0
		.amdhsa_uses_dynamic_stack 0
		.amdhsa_system_sgpr_private_segment_wavefront_offset 0
		.amdhsa_system_sgpr_workgroup_id_x 1
		.amdhsa_system_sgpr_workgroup_id_y 0
		.amdhsa_system_sgpr_workgroup_id_z 0
		.amdhsa_system_sgpr_workgroup_info 0
		.amdhsa_system_vgpr_workitem_id 0
		.amdhsa_next_free_vgpr 42
		.amdhsa_next_free_sgpr 40
		.amdhsa_accum_offset 44
		.amdhsa_reserve_vcc 1
		.amdhsa_reserve_flat_scratch 0
		.amdhsa_float_round_mode_32 0
		.amdhsa_float_round_mode_16_64 0
		.amdhsa_float_denorm_mode_32 3
		.amdhsa_float_denorm_mode_16_64 3
		.amdhsa_dx10_clamp 1
		.amdhsa_ieee_mode 1
		.amdhsa_fp16_overflow 0
		.amdhsa_tg_split 0
		.amdhsa_exception_fp_ieee_invalid_op 0
		.amdhsa_exception_fp_denorm_src 0
		.amdhsa_exception_fp_ieee_div_zero 0
		.amdhsa_exception_fp_ieee_overflow 0
		.amdhsa_exception_fp_ieee_underflow 0
		.amdhsa_exception_fp_ieee_inexact 0
		.amdhsa_exception_int_div_zero 0
	.end_amdhsa_kernel
	.section	.text._ZL16k_set_rows_quantIi10block_q8_0Li32ETnPFvPKfPT0_EXadL_ZL23quantize_f32_q8_0_blockS2_PS0_EEEvS2_PKT_S4_llllllllllllll15HIP_vector_typeIjLj3EESC_SC_SC_SC_,"axG",@progbits,_ZL16k_set_rows_quantIi10block_q8_0Li32ETnPFvPKfPT0_EXadL_ZL23quantize_f32_q8_0_blockS2_PS0_EEEvS2_PKT_S4_llllllllllllll15HIP_vector_typeIjLj3EESC_SC_SC_SC_,comdat
.Lfunc_end16:
	.size	_ZL16k_set_rows_quantIi10block_q8_0Li32ETnPFvPKfPT0_EXadL_ZL23quantize_f32_q8_0_blockS2_PS0_EEEvS2_PKT_S4_llllllllllllll15HIP_vector_typeIjLj3EESC_SC_SC_SC_, .Lfunc_end16-_ZL16k_set_rows_quantIi10block_q8_0Li32ETnPFvPKfPT0_EXadL_ZL23quantize_f32_q8_0_blockS2_PS0_EEEvS2_PKT_S4_llllllllllllll15HIP_vector_typeIjLj3EESC_SC_SC_SC_
                                        ; -- End function
	.section	.AMDGPU.csdata,"",@progbits
; Kernel info:
; codeLenInByte = 3056
; NumSgprs: 44
; NumVgprs: 42
; NumAgprs: 0
; TotalNumVgprs: 42
; ScratchSize: 0
; MemoryBound: 0
; FloatMode: 240
; IeeeMode: 1
; LDSByteSize: 0 bytes/workgroup (compile time only)
; SGPRBlocks: 5
; VGPRBlocks: 5
; NumSGPRsForWavesPerEU: 44
; NumVGPRsForWavesPerEU: 42
; AccumOffset: 44
; Occupancy: 8
; WaveLimiterHint : 1
; COMPUTE_PGM_RSRC2:SCRATCH_EN: 0
; COMPUTE_PGM_RSRC2:USER_SGPR: 6
; COMPUTE_PGM_RSRC2:TRAP_HANDLER: 0
; COMPUTE_PGM_RSRC2:TGID_X_EN: 1
; COMPUTE_PGM_RSRC2:TGID_Y_EN: 0
; COMPUTE_PGM_RSRC2:TGID_Z_EN: 0
; COMPUTE_PGM_RSRC2:TIDIG_COMP_CNT: 0
; COMPUTE_PGM_RSRC3_GFX90A:ACCUM_OFFSET: 10
; COMPUTE_PGM_RSRC3_GFX90A:TG_SPLIT: 0
	.section	.text._ZL16k_set_rows_quantIi12block_iq4_nlLi32ETnPFvPKfPT0_EXadL_ZL25quantize_f32_iq4_nl_blockS2_PS0_EEEvS2_PKT_S4_llllllllllllll15HIP_vector_typeIjLj3EESC_SC_SC_SC_,"axG",@progbits,_ZL16k_set_rows_quantIi12block_iq4_nlLi32ETnPFvPKfPT0_EXadL_ZL25quantize_f32_iq4_nl_blockS2_PS0_EEEvS2_PKT_S4_llllllllllllll15HIP_vector_typeIjLj3EESC_SC_SC_SC_,comdat
	.globl	_ZL16k_set_rows_quantIi12block_iq4_nlLi32ETnPFvPKfPT0_EXadL_ZL25quantize_f32_iq4_nl_blockS2_PS0_EEEvS2_PKT_S4_llllllllllllll15HIP_vector_typeIjLj3EESC_SC_SC_SC_ ; -- Begin function _ZL16k_set_rows_quantIi12block_iq4_nlLi32ETnPFvPKfPT0_EXadL_ZL25quantize_f32_iq4_nl_blockS2_PS0_EEEvS2_PKT_S4_llllllllllllll15HIP_vector_typeIjLj3EESC_SC_SC_SC_
	.p2align	8
	.type	_ZL16k_set_rows_quantIi12block_iq4_nlLi32ETnPFvPKfPT0_EXadL_ZL25quantize_f32_iq4_nl_blockS2_PS0_EEEvS2_PKT_S4_llllllllllllll15HIP_vector_typeIjLj3EESC_SC_SC_SC_,@function
_ZL16k_set_rows_quantIi12block_iq4_nlLi32ETnPFvPKfPT0_EXadL_ZL25quantize_f32_iq4_nl_blockS2_PS0_EEEvS2_PKT_S4_llllllllllllll15HIP_vector_typeIjLj3EESC_SC_SC_SC_: ; @_ZL16k_set_rows_quantIi12block_iq4_nlLi32ETnPFvPKfPT0_EXadL_ZL25quantize_f32_iq4_nl_blockS2_PS0_EEEvS2_PKT_S4_llllllllllllll15HIP_vector_typeIjLj3EESC_SC_SC_SC_
; %bb.0:
	s_load_dword s2, s[4:5], 0xd4
	s_load_dwordx2 s[0:1], s[4:5], 0x18
	v_mov_b32_e32 v1, 0
	v_mov_b32_e32 v2, s6
	s_waitcnt lgkmcnt(0)
	s_and_b32 s2, s2, 0xffff
	v_mad_u64_u32 v[2:3], s[2:3], s2, v2, v[0:1]
	v_cmp_gt_i64_e32 vcc, s[0:1], v[2:3]
	s_and_saveexec_b64 s[0:1], vcc
	s_cbranch_execz .LBB17_16
; %bb.1:
	s_load_dwordx4 s[0:3], s[4:5], 0x0
	s_load_dwordx2 s[6:7], s[4:5], 0x10
	s_load_dwordx16 s[8:23], s[4:5], 0x40
	s_load_dwordx8 s[24:31], s[4:5], 0x88
	s_load_dword s33, s[4:5], 0xc0
	s_load_dwordx2 s[34:35], s[4:5], 0xb8
	s_load_dwordx4 s[36:39], s[4:5], 0xa8
	v_lshlrev_b32_e32 v6, 5, v2
	s_waitcnt lgkmcnt(0)
	v_mul_hi_u32 v0, s24, v6
	v_add_u32_e32 v0, v6, v0
	v_lshrrev_b32_e32 v7, s25, v0
	v_mul_hi_u32 v0, v7, s27
	v_add_u32_e32 v0, v7, v0
	v_lshrrev_b32_e32 v0, s28, v0
	v_mul_lo_u32 v2, v0, s29
	v_sub_u32_e32 v8, v7, v2
	v_mul_hi_u32 v2, v0, s30
	v_add_u32_e32 v2, v0, v2
	v_lshrrev_b32_e32 v11, s31, v2
	v_mul_lo_u32 v2, v11, s36
	v_sub_u32_e32 v12, v0, v2
	;; [unrolled: 5-line block ×3, first 2 shown]
	v_mul_hi_u32 v0, v12, s37
	v_add_u32_e32 v0, v12, v0
	v_lshrrev_b32_e32 v0, s38, v0
	v_mul_lo_u32 v0, v0, s39
	v_mad_u64_u32 v[2:3], s[24:25], v8, s14, 0
	v_sub_u32_e32 v10, v12, v0
	v_mov_b32_e32 v0, v3
	v_mad_u64_u32 v[4:5], s[14:15], v8, s15, v[0:1]
	v_mov_b32_e32 v3, v4
	v_lshlrev_b64 v[2:3], 2, v[2:3]
	v_mov_b32_e32 v0, s3
	v_add_co_u32_e32 v13, vcc, s2, v2
	v_addc_co_u32_e32 v14, vcc, v0, v3, vcc
	v_mad_u64_u32 v[2:3], s[2:3], v10, s16, 0
	v_mov_b32_e32 v0, v3
	v_mad_u64_u32 v[4:5], s[2:3], v10, s17, v[0:1]
	v_mov_b32_e32 v3, v4
	v_lshlrev_b64 v[2:3], 2, v[2:3]
	v_add_co_u32_e32 v10, vcc, v13, v2
	v_addc_co_u32_e32 v13, vcc, v14, v3, vcc
	v_mad_u64_u32 v[2:3], s[2:3], v9, s18, 0
	v_mov_b32_e32 v0, v3
	v_mad_u64_u32 v[4:5], s[2:3], v9, s19, v[0:1]
	v_mov_b32_e32 v3, v4
	v_lshlrev_b64 v[2:3], 2, v[2:3]
	v_add_co_u32_e32 v2, vcc, v10, v2
	v_addc_co_u32_e32 v3, vcc, v13, v3, vcc
	global_load_dword v13, v[2:3], off
	v_mad_u64_u32 v[2:3], s[14:15], v8, s8, 0
	v_mul_lo_u32 v0, v7, s26
	v_mov_b32_e32 v4, v3
	v_sub_u32_e32 v0, v6, v0
	v_mad_u64_u32 v[6:7], s[14:15], v11, s12, 0
	v_mad_u64_u32 v[4:5], s[8:9], v8, s9, v[4:5]
	v_mov_b32_e32 v8, v7
	v_mov_b32_e32 v3, v4
	v_mad_u64_u32 v[4:5], s[8:9], v12, s10, 0
	v_mad_u64_u32 v[8:9], s[8:9], v11, s13, v[8:9]
	v_lshlrev_b64 v[2:3], 2, v[2:3]
	v_mov_b32_e32 v14, s1
	v_mov_b32_e32 v10, v5
	v_mov_b32_e32 v7, v8
	v_add_co_u32_e32 v8, vcc, s0, v2
	v_addc_co_u32_e32 v9, vcc, v14, v3, vcc
	v_mad_u64_u32 v[2:3], s[0:1], v12, s11, v[10:11]
	v_mov_b32_e32 v5, v2
	v_lshlrev_b64 v[2:3], 2, v[4:5]
	s_load_dwordx2 s[4:5], s[4:5], 0x80
	v_add_co_u32_e32 v2, vcc, v8, v2
	v_lshlrev_b64 v[6:7], 2, v[6:7]
	v_addc_co_u32_e32 v3, vcc, v9, v3, vcc
	v_add_co_u32_e32 v6, vcc, v2, v6
	v_addc_co_u32_e32 v7, vcc, v3, v7, vcc
	s_mov_b32 s3, 0
	s_mov_b32 s11, 0x42e20000
	s_waitcnt vmcnt(0)
	v_ashrrev_i32_e32 v4, 31, v13
	v_mul_lo_u32 v5, v13, s21
	v_mad_u64_u32 v[2:3], s[0:1], v13, s20, 0
	v_mul_lo_u32 v4, v4, s20
	v_add3_u32 v3, v3, v5, v4
	s_waitcnt lgkmcnt(0)
	v_mad_u64_u32 v[2:3], s[0:1], v11, s4, v[2:3]
	v_mov_b32_e32 v4, v3
	v_mad_u64_u32 v[4:5], s[0:1], v11, s5, v[4:5]
	v_mov_b32_e32 v3, v4
	;; [unrolled: 2-line block ×3, first 2 shown]
	v_mad_u64_u32 v[22:23], s[0:1], v12, s23, v[2:3]
	v_lshlrev_b64 v[2:3], 2, v[0:1]
	s_add_u32 s0, 0, 0x38e27e00
	v_add_co_u32_e32 v10, vcc, v6, v2
	s_addc_u32 s1, 0, 62
	v_addc_co_u32_e32 v11, vcc, v7, v3, vcc
	s_add_i32 s1, s1, 0xe38e350
	s_mul_hi_u32 s8, s0, 0xffffffee
	global_load_dwordx4 v[6:9], v[10:11], off offset:16
	global_load_dwordx4 v[12:15], v[10:11], off
	s_sub_i32 s8, s8, s0
	s_mul_i32 s9, s1, 0xffffffee
	s_mul_i32 s2, s0, 0xffffffee
	s_add_i32 s8, s8, s9
	s_mul_hi_u32 s4, s1, s2
	s_mul_i32 s5, s1, s2
	s_mul_i32 s10, s0, s8
	s_mul_hi_u32 s2, s0, s2
	s_mul_hi_u32 s9, s0, s8
	s_add_u32 s2, s2, s10
	s_addc_u32 s9, 0, s9
	s_add_u32 s2, s2, s5
	s_mul_hi_u32 s10, s1, s8
	s_addc_u32 s2, s9, s4
	s_addc_u32 s4, s10, 0
	s_mul_i32 s5, s1, s8
	s_add_u32 s2, s2, s5
	v_mov_b32_e32 v2, s2
	s_addc_u32 s4, 0, s4
	v_add_co_u32_e32 v21, vcc, s0, v2
	s_cmp_lg_u64 vcc, 0
	s_addc_u32 s2, s1, s4
	v_mad_u64_u32 v[2:3], s[0:1], v20, s2, 0
	v_mul_hi_u32 v4, v20, v21
	v_add_co_u32_e32 v23, vcc, v4, v2
	v_addc_co_u32_e32 v28, vcc, 0, v3, vcc
	global_load_dwordx4 v[2:5], v[10:11], off offset:48
	global_load_dwordx4 v[16:19], v[10:11], off offset:32
	v_mad_u64_u32 v[24:25], s[0:1], v22, v21, 0
	v_add_co_u32_e32 v21, vcc, v23, v24
	v_mad_u64_u32 v[26:27], s[0:1], v22, s2, 0
	v_addc_co_u32_e32 v21, vcc, v28, v25, vcc
	v_addc_co_u32_e32 v23, vcc, 0, v27, vcc
	v_add_co_u32_e32 v36, vcc, v21, v26
	v_mad_u64_u32 v[24:25], s[0:1], v36, 18, 0
	v_addc_co_u32_e32 v37, vcc, 0, v23, vcc
	v_mov_b32_e32 v26, v25
	v_mad_u64_u32 v[26:27], s[0:1], v37, 18, v[26:27]
	v_sub_co_u32_e32 v28, vcc, v20, v24
	v_subb_co_u32_e32 v29, vcc, v22, v26, vcc
	global_load_dwordx4 v[20:23], v[10:11], off offset:80
	global_load_dwordx4 v[24:27], v[10:11], off offset:64
	v_subrev_co_u32_e32 v30, vcc, 18, v28
	v_subbrev_co_u32_e32 v31, vcc, 0, v29, vcc
	v_cmp_lt_u32_e32 vcc, 17, v30
	v_cndmask_b32_e64 v30, 0, -1, vcc
	v_cmp_eq_u32_e32 vcc, 0, v31
	v_cndmask_b32_e32 v30, -1, v30, vcc
	v_add_co_u32_e32 v38, vcc, 2, v36
	v_addc_co_u32_e32 v31, vcc, 0, v37, vcc
	v_add_co_u32_e32 v39, vcc, 1, v36
	v_addc_co_u32_e32 v32, vcc, 0, v37, vcc
	v_cmp_lt_u32_e64 s[0:1], 17, v28
	v_cmp_ne_u32_e32 vcc, 0, v30
	v_cndmask_b32_e64 v28, 0, -1, s[0:1]
	v_cmp_eq_u32_e64 s[0:1], 0, v29
	v_cndmask_b32_e32 v40, v32, v31, vcc
	v_cndmask_b32_e64 v41, -1, v28, s[0:1]
	global_load_dwordx4 v[28:31], v[10:11], off offset:112
	global_load_dwordx4 v[32:35], v[10:11], off offset:96
	v_cmp_ne_u32_e64 s[0:1], 0, v41
	v_cndmask_b32_e64 v40, v37, v40, s[0:1]
	v_cndmask_b32_e32 v37, v39, v38, vcc
	v_cndmask_b32_e64 v36, v36, v37, s[0:1]
	v_mad_u64_u32 v[36:37], s[0:1], v36, 18, s[6:7]
	s_waitcnt vmcnt(6)
	v_cmp_lg_f32_e32 vcc, 0, v12
	v_mov_b32_e32 v38, v37
	v_cndmask_b32_e32 v37, 0, v12, vcc
	v_cndmask_b32_e64 v12, 0, |v12|, vcc
	v_cmp_lt_f32_e64 vcc, v12, |v13|
	v_cndmask_b32_e64 v12, v12, |v13|, vcc
	v_cndmask_b32_e32 v37, v37, v13, vcc
	v_cmp_lt_f32_e64 vcc, v12, |v14|
	v_cndmask_b32_e64 v12, v12, |v14|, vcc
	v_cndmask_b32_e32 v13, v37, v14, vcc
	v_cmp_lt_f32_e64 vcc, v12, |v15|
	v_cndmask_b32_e64 v12, v12, |v15|, vcc
	v_cndmask_b32_e32 v13, v13, v15, vcc
	v_cmp_lt_f32_e64 vcc, v12, |v6|
	v_cndmask_b32_e32 v13, v13, v6, vcc
	v_cndmask_b32_e64 v6, v12, |v6|, vcc
	v_cmp_lt_f32_e64 vcc, v6, |v7|
	v_cndmask_b32_e64 v6, v6, |v7|, vcc
	v_cndmask_b32_e32 v12, v13, v7, vcc
	v_cmp_lt_f32_e64 vcc, v6, |v8|
	v_cndmask_b32_e64 v6, v6, |v8|, vcc
	v_cndmask_b32_e32 v7, v12, v8, vcc
	;; [unrolled: 3-line block ×3, first 2 shown]
	s_mov_b32 s10, 0xc2fe0000
	s_waitcnt vmcnt(4)
	v_cmp_lt_f32_e64 vcc, v6, |v16|
	v_cndmask_b32_e64 v6, v6, |v16|, vcc
	v_cndmask_b32_e32 v7, v7, v16, vcc
	v_cmp_lt_f32_e64 vcc, v6, |v17|
	v_cndmask_b32_e64 v6, v6, |v17|, vcc
	v_cndmask_b32_e32 v7, v7, v17, vcc
	v_cmp_lt_f32_e64 vcc, v6, |v18|
	v_cndmask_b32_e64 v6, v6, |v18|, vcc
	v_cndmask_b32_e32 v7, v7, v18, vcc
	v_cmp_lt_f32_e64 vcc, v6, |v19|
	v_cndmask_b32_e64 v6, v6, |v19|, vcc
	v_cndmask_b32_e32 v7, v7, v19, vcc
	v_cmp_lt_f32_e64 vcc, v6, |v2|
	v_cndmask_b32_e32 v7, v7, v2, vcc
	v_cndmask_b32_e64 v2, v6, |v2|, vcc
	v_cmp_lt_f32_e64 vcc, v2, |v3|
	v_cndmask_b32_e64 v2, v2, |v3|, vcc
	v_cndmask_b32_e32 v6, v7, v3, vcc
	v_cmp_lt_f32_e64 vcc, v2, |v4|
	v_cndmask_b32_e64 v2, v2, |v4|, vcc
	v_cndmask_b32_e32 v3, v6, v4, vcc
	;; [unrolled: 3-line block ×3, first 2 shown]
	s_waitcnt vmcnt(2)
	v_cmp_lt_f32_e64 vcc, v2, |v24|
	v_cndmask_b32_e64 v2, v2, |v24|, vcc
	v_cndmask_b32_e32 v3, v3, v24, vcc
	v_cmp_lt_f32_e64 vcc, v2, |v25|
	v_cndmask_b32_e64 v2, v2, |v25|, vcc
	v_cndmask_b32_e32 v3, v3, v25, vcc
	;; [unrolled: 3-line block ×8, first 2 shown]
	s_waitcnt vmcnt(0)
	v_cmp_lt_f32_e64 vcc, v2, |v32|
	v_cndmask_b32_e64 v2, v2, |v32|, vcc
	v_cndmask_b32_e32 v3, v3, v32, vcc
	v_cmp_lt_f32_e64 vcc, v2, |v33|
	v_cndmask_b32_e64 v2, v2, |v33|, vcc
	v_cndmask_b32_e32 v3, v3, v33, vcc
	v_cmp_lt_f32_e64 vcc, v2, |v34|
	v_cndmask_b32_e64 v2, v2, |v34|, vcc
	v_cndmask_b32_e32 v3, v3, v34, vcc
	v_cmp_lt_f32_e64 vcc, v2, |v35|
	v_cndmask_b32_e64 v2, v2, |v35|, vcc
	v_cndmask_b32_e32 v3, v3, v35, vcc
	v_cmp_lt_f32_e64 vcc, v2, |v28|
	v_cndmask_b32_e64 v2, v2, |v28|, vcc
	v_cndmask_b32_e32 v3, v3, v28, vcc
	v_cmp_lt_f32_e64 vcc, v2, |v29|
	v_cndmask_b32_e64 v2, v2, |v29|, vcc
	v_cndmask_b32_e32 v3, v3, v29, vcc
	v_cmp_lt_f32_e64 vcc, v2, |v30|
	v_cndmask_b32_e64 v2, v2, |v30|, vcc
	v_cndmask_b32_e32 v3, v3, v30, vcc
	v_cmp_lt_f32_e64 vcc, v2, |v31|
	v_cndmask_b32_e32 v4, v3, v31, vcc
	v_div_scale_f32 v5, s[0:1], s10, s10, v4
	v_rcp_f32_e32 v6, v5
	v_mad_u64_u32 v[2:3], s[0:1], v40, 18, v[38:39]
	v_mov_b32_e32 v37, v2
	v_fma_f32 v2, -v5, v6, 1.0
	v_fmac_f32_e32 v6, v2, v6
	v_div_scale_f32 v2, vcc, v4, s10, v4
	v_mul_f32_e32 v3, v2, v6
	v_fma_f32 v7, -v5, v3, v2
	v_fmac_f32_e32 v3, v7, v6
	v_fma_f32 v2, -v5, v3, v2
	v_div_fmas_f32 v2, v2, v6, v3
	v_div_fixup_f32 v4, v2, s10, v4
	v_div_scale_f32 v5, s[0:1], v4, v4, 1.0
	v_rcp_f32_e32 v6, v5
	v_lshrrev_b32_e32 v0, 5, v0
	v_mad_u64_u32 v[2:3], s[0:1], v0, 18, v[36:37]
	v_fma_f32 v0, -v5, v6, 1.0
	v_fmac_f32_e32 v6, v0, v6
	v_div_scale_f32 v0, vcc, 1.0, v4, 1.0
	v_mul_f32_e32 v7, v0, v6
	v_fma_f32 v8, -v5, v7, v0
	v_fmac_f32_e32 v7, v8, v6
	v_fma_f32 v0, -v5, v7, v0
	v_div_fmas_f32 v0, v0, v6, v7
	v_div_fixup_f32 v0, v0, v4, 1.0
	v_cmp_neq_f32_e32 vcc, 0, v4
	v_cndmask_b32_e32 v5, 0, v0, vcc
	v_add_co_u32_e32 v6, vcc, 2, v2
	v_addc_co_u32_e32 v7, vcc, 0, v3, vcc
	v_mov_b32_e32 v0, 0
	s_mov_b32 s2, s3
	s_branch .LBB17_4
.LBB17_2:                               ;   in Loop: Header=BB17_4 Depth=1
	s_or_b64 exec, exec, s[4:5]
.LBB17_3:                               ;   in Loop: Header=BB17_4 Depth=1
	s_or_b64 exec, exec, s[0:1]
	v_and_b32_e32 v14, 0xff, v13
	s_getpc_b64 s[0:1]
	s_add_u32 s0, s0, _ZL13kvalues_iq4nl@rel32@lo+4
	s_addc_u32 s1, s1, _ZL13kvalues_iq4nl@rel32@hi+12
	v_and_b32_e32 v15, 0xff, v12
	global_load_sbyte v16, v14, s[0:1]
	global_load_sbyte v17, v15, s[0:1]
	v_lshl_or_b32 v14, v12, 4, v13
	v_mov_b32_e32 v13, s3
	v_add_co_u32_e32 v12, vcc, s2, v6
	v_mul_f32_e32 v18, v9, v9
	v_addc_co_u32_e32 v13, vcc, v7, v13, vcc
	v_mul_f32_e32 v15, v8, v8
	global_store_byte v[12:13], v14, off
	s_add_i32 s2, s2, 1
	s_cmp_lg_u32 s2, 16
	s_waitcnt vmcnt(2)
	v_cvt_f32_i32_e32 v16, v16
	s_waitcnt vmcnt(1)
	v_cvt_f32_i32_e32 v17, v17
	v_mul_f32_e32 v12, v15, v16
	v_mul_f32_e32 v13, v18, v17
	;; [unrolled: 1-line block ×4, first 2 shown]
	v_fmac_f32_e32 v9, v8, v12
	v_fmac_f32_e32 v13, v12, v16
	v_add_f32_e32 v1, v1, v9
	v_add_f32_e32 v0, v0, v13
	s_cbranch_scc0 .LBB17_15
.LBB17_4:                               ; =>This Loop Header: Depth=1
                                        ;     Child Loop BB17_7 Depth 2
                                        ;     Child Loop BB17_13 Depth 2
	s_lshl_b64 s[0:1], s[2:3], 2
	v_mov_b32_e32 v8, s1
	v_add_co_u32_e32 v12, vcc, s0, v10
	v_addc_co_u32_e32 v13, vcc, v11, v8, vcc
	global_load_dword v8, v[12:13], off
	global_load_dword v9, v[12:13], off offset:64
	v_mov_b32_e32 v12, 0
	v_mov_b32_e32 v13, 0
	s_waitcnt vmcnt(1)
	v_mul_f32_e32 v14, v5, v8
	v_cmp_nge_f32_e32 vcc, s10, v14
	s_and_saveexec_b64 s[0:1], vcc
	s_cbranch_execz .LBB17_10
; %bb.5:                                ;   in Loop: Header=BB17_4 Depth=1
	v_cmp_nle_f32_e32 vcc, s11, v14
	v_mov_b32_e32 v13, 15
	s_and_saveexec_b64 s[4:5], vcc
	s_cbranch_execz .LBB17_9
; %bb.6:                                ;   in Loop: Header=BB17_4 Depth=1
	s_mov_b64 s[6:7], 0
	v_mov_b32_e32 v13, 15
	v_mov_b32_e32 v15, 0
.LBB17_7:                               ;   Parent Loop BB17_4 Depth=1
                                        ; =>  This Inner Loop Header: Depth=2
	v_add_u32_e32 v16, v15, v13
	v_lshrrev_b32_e32 v17, 31, v16
	v_add_u32_e32 v16, v16, v17
	s_getpc_b64 s[8:9]
	s_add_u32 s8, s8, _ZL13kvalues_iq4nl@rel32@lo+4
	s_addc_u32 s9, s9, _ZL13kvalues_iq4nl@rel32@hi+12
	v_ashrrev_i32_e32 v19, 1, v16
	v_mov_b32_e32 v18, s9
	v_ashrrev_i32_e32 v17, 31, v19
	v_add_co_u32_e32 v16, vcc, s8, v19
	v_addc_co_u32_e32 v17, vcc, v17, v18, vcc
	global_load_sbyte v16, v[16:17], off
	s_waitcnt vmcnt(0)
	v_cvt_f32_i32_e32 v16, v16
	v_cmp_lt_f32_e32 vcc, v14, v16
	v_cndmask_b32_e32 v15, v19, v15, vcc
	v_cndmask_b32_e32 v13, v13, v19, vcc
	v_sub_u32_e32 v16, v13, v15
	v_cmp_gt_i32_e32 vcc, 2, v16
	s_or_b64 s[6:7], vcc, s[6:7]
	s_andn2_b64 exec, exec, s[6:7]
	s_cbranch_execnz .LBB17_7
; %bb.8:                                ;   in Loop: Header=BB17_4 Depth=1
	s_or_b64 exec, exec, s[6:7]
	v_add_u32_e32 v15, -1, v13
	v_ashrrev_i32_e32 v17, 31, v15
	v_mov_b32_e32 v19, s9
	v_add_co_u32_e32 v16, vcc, s8, v15
	v_addc_co_u32_e32 v17, vcc, v17, v19, vcc
	v_ashrrev_i32_e32 v20, 31, v13
	v_add_co_u32_e32 v18, vcc, s8, v13
	v_addc_co_u32_e32 v19, vcc, v20, v19, vcc
	global_load_sbyte v20, v[16:17], off
	global_load_sbyte v21, v[18:19], off
	s_waitcnt vmcnt(1)
	v_cvt_f32_i32_e32 v16, v20
	s_waitcnt vmcnt(0)
	v_cvt_f32_i32_e32 v17, v21
	v_sub_f32_e32 v16, v14, v16
	v_sub_f32_e32 v14, v17, v14
	v_cmp_lt_f32_e32 vcc, v16, v14
	v_cndmask_b32_e32 v13, v13, v15, vcc
.LBB17_9:                               ;   in Loop: Header=BB17_4 Depth=1
	s_or_b64 exec, exec, s[4:5]
.LBB17_10:                              ;   in Loop: Header=BB17_4 Depth=1
	s_or_b64 exec, exec, s[0:1]
	s_waitcnt vmcnt(0)
	v_mul_f32_e32 v14, v5, v9
	v_cmp_nge_f32_e32 vcc, s10, v14
	s_and_saveexec_b64 s[0:1], vcc
	s_cbranch_execz .LBB17_3
; %bb.11:                               ;   in Loop: Header=BB17_4 Depth=1
	v_cmp_nle_f32_e32 vcc, s11, v14
	v_mov_b32_e32 v12, 15
	s_and_saveexec_b64 s[4:5], vcc
	s_cbranch_execz .LBB17_2
; %bb.12:                               ;   in Loop: Header=BB17_4 Depth=1
	s_mov_b64 s[6:7], 0
	v_mov_b32_e32 v12, 15
	v_mov_b32_e32 v15, 0
.LBB17_13:                              ;   Parent Loop BB17_4 Depth=1
                                        ; =>  This Inner Loop Header: Depth=2
	v_add_u32_e32 v16, v15, v12
	v_lshrrev_b32_e32 v17, 31, v16
	v_add_u32_e32 v16, v16, v17
	s_getpc_b64 s[8:9]
	s_add_u32 s8, s8, _ZL13kvalues_iq4nl@rel32@lo+4
	s_addc_u32 s9, s9, _ZL13kvalues_iq4nl@rel32@hi+12
	v_ashrrev_i32_e32 v19, 1, v16
	v_mov_b32_e32 v18, s9
	v_ashrrev_i32_e32 v17, 31, v19
	v_add_co_u32_e32 v16, vcc, s8, v19
	v_addc_co_u32_e32 v17, vcc, v17, v18, vcc
	global_load_sbyte v16, v[16:17], off
	s_waitcnt vmcnt(0)
	v_cvt_f32_i32_e32 v16, v16
	v_cmp_lt_f32_e32 vcc, v14, v16
	v_cndmask_b32_e32 v15, v19, v15, vcc
	v_cndmask_b32_e32 v12, v12, v19, vcc
	v_sub_u32_e32 v16, v12, v15
	v_cmp_gt_i32_e32 vcc, 2, v16
	s_or_b64 s[6:7], vcc, s[6:7]
	s_andn2_b64 exec, exec, s[6:7]
	s_cbranch_execnz .LBB17_13
; %bb.14:                               ;   in Loop: Header=BB17_4 Depth=1
	s_or_b64 exec, exec, s[6:7]
	v_add_u32_e32 v15, -1, v12
	v_ashrrev_i32_e32 v17, 31, v15
	v_mov_b32_e32 v19, s9
	v_add_co_u32_e32 v16, vcc, s8, v15
	v_addc_co_u32_e32 v17, vcc, v17, v19, vcc
	v_ashrrev_i32_e32 v20, 31, v12
	v_add_co_u32_e32 v18, vcc, s8, v12
	v_addc_co_u32_e32 v19, vcc, v20, v19, vcc
	global_load_sbyte v20, v[16:17], off
	global_load_sbyte v21, v[18:19], off
	s_waitcnt vmcnt(1)
	v_cvt_f32_i32_e32 v16, v20
	s_waitcnt vmcnt(0)
	v_cvt_f32_i32_e32 v17, v21
	v_sub_f32_e32 v16, v14, v16
	v_sub_f32_e32 v14, v17, v14
	v_cmp_lt_f32_e32 vcc, v16, v14
	v_cndmask_b32_e32 v12, v12, v15, vcc
	s_branch .LBB17_2
.LBB17_15:
	v_div_scale_f32 v5, s[0:1], v0, v0, v1
	v_rcp_f32_e32 v6, v5
	v_div_scale_f32 v7, vcc, v1, v0, v1
	v_fma_f32 v8, -v5, v6, 1.0
	v_fmac_f32_e32 v6, v8, v6
	v_mul_f32_e32 v8, v7, v6
	v_fma_f32 v9, -v5, v8, v7
	v_fmac_f32_e32 v8, v9, v6
	v_fma_f32 v5, -v5, v8, v7
	v_div_fmas_f32 v5, v5, v6, v8
	v_div_fixup_f32 v1, v5, v0, v1
	v_cmp_lt_f32_e32 vcc, 0, v0
	v_cndmask_b32_e32 v0, v4, v1, vcc
	v_cvt_f16_f32_e32 v0, v0
	global_store_short v[2:3], v0, off
.LBB17_16:
	s_endpgm
	.section	.rodata,"a",@progbits
	.p2align	6, 0x0
	.amdhsa_kernel _ZL16k_set_rows_quantIi12block_iq4_nlLi32ETnPFvPKfPT0_EXadL_ZL25quantize_f32_iq4_nl_blockS2_PS0_EEEvS2_PKT_S4_llllllllllllll15HIP_vector_typeIjLj3EESC_SC_SC_SC_
		.amdhsa_group_segment_fixed_size 0
		.amdhsa_private_segment_fixed_size 0
		.amdhsa_kernarg_size 456
		.amdhsa_user_sgpr_count 6
		.amdhsa_user_sgpr_private_segment_buffer 1
		.amdhsa_user_sgpr_dispatch_ptr 0
		.amdhsa_user_sgpr_queue_ptr 0
		.amdhsa_user_sgpr_kernarg_segment_ptr 1
		.amdhsa_user_sgpr_dispatch_id 0
		.amdhsa_user_sgpr_flat_scratch_init 0
		.amdhsa_user_sgpr_kernarg_preload_length 0
		.amdhsa_user_sgpr_kernarg_preload_offset 0
		.amdhsa_user_sgpr_private_segment_size 0
		.amdhsa_uses_dynamic_stack 0
		.amdhsa_system_sgpr_private_segment_wavefront_offset 0
		.amdhsa_system_sgpr_workgroup_id_x 1
		.amdhsa_system_sgpr_workgroup_id_y 0
		.amdhsa_system_sgpr_workgroup_id_z 0
		.amdhsa_system_sgpr_workgroup_info 0
		.amdhsa_system_vgpr_workitem_id 0
		.amdhsa_next_free_vgpr 42
		.amdhsa_next_free_sgpr 40
		.amdhsa_accum_offset 44
		.amdhsa_reserve_vcc 1
		.amdhsa_reserve_flat_scratch 0
		.amdhsa_float_round_mode_32 0
		.amdhsa_float_round_mode_16_64 0
		.amdhsa_float_denorm_mode_32 3
		.amdhsa_float_denorm_mode_16_64 3
		.amdhsa_dx10_clamp 1
		.amdhsa_ieee_mode 1
		.amdhsa_fp16_overflow 0
		.amdhsa_tg_split 0
		.amdhsa_exception_fp_ieee_invalid_op 0
		.amdhsa_exception_fp_denorm_src 0
		.amdhsa_exception_fp_ieee_div_zero 0
		.amdhsa_exception_fp_ieee_overflow 0
		.amdhsa_exception_fp_ieee_underflow 0
		.amdhsa_exception_fp_ieee_inexact 0
		.amdhsa_exception_int_div_zero 0
	.end_amdhsa_kernel
	.section	.text._ZL16k_set_rows_quantIi12block_iq4_nlLi32ETnPFvPKfPT0_EXadL_ZL25quantize_f32_iq4_nl_blockS2_PS0_EEEvS2_PKT_S4_llllllllllllll15HIP_vector_typeIjLj3EESC_SC_SC_SC_,"axG",@progbits,_ZL16k_set_rows_quantIi12block_iq4_nlLi32ETnPFvPKfPT0_EXadL_ZL25quantize_f32_iq4_nl_blockS2_PS0_EEEvS2_PKT_S4_llllllllllllll15HIP_vector_typeIjLj3EESC_SC_SC_SC_,comdat
.Lfunc_end17:
	.size	_ZL16k_set_rows_quantIi12block_iq4_nlLi32ETnPFvPKfPT0_EXadL_ZL25quantize_f32_iq4_nl_blockS2_PS0_EEEvS2_PKT_S4_llllllllllllll15HIP_vector_typeIjLj3EESC_SC_SC_SC_, .Lfunc_end17-_ZL16k_set_rows_quantIi12block_iq4_nlLi32ETnPFvPKfPT0_EXadL_ZL25quantize_f32_iq4_nl_blockS2_PS0_EEEvS2_PKT_S4_llllllllllllll15HIP_vector_typeIjLj3EESC_SC_SC_SC_
                                        ; -- End function
	.section	.AMDGPU.csdata,"",@progbits
; Kernel info:
; codeLenInByte = 2656
; NumSgprs: 44
; NumVgprs: 42
; NumAgprs: 0
; TotalNumVgprs: 42
; ScratchSize: 0
; MemoryBound: 0
; FloatMode: 240
; IeeeMode: 1
; LDSByteSize: 0 bytes/workgroup (compile time only)
; SGPRBlocks: 5
; VGPRBlocks: 5
; NumSGPRsForWavesPerEU: 44
; NumVGPRsForWavesPerEU: 42
; AccumOffset: 44
; Occupancy: 8
; WaveLimiterHint : 1
; COMPUTE_PGM_RSRC2:SCRATCH_EN: 0
; COMPUTE_PGM_RSRC2:USER_SGPR: 6
; COMPUTE_PGM_RSRC2:TRAP_HANDLER: 0
; COMPUTE_PGM_RSRC2:TGID_X_EN: 1
; COMPUTE_PGM_RSRC2:TGID_Y_EN: 0
; COMPUTE_PGM_RSRC2:TGID_Z_EN: 0
; COMPUTE_PGM_RSRC2:TIDIG_COMP_CNT: 0
; COMPUTE_PGM_RSRC3_GFX90A:ACCUM_OFFSET: 10
; COMPUTE_PGM_RSRC3_GFX90A:TG_SPLIT: 0
	.text
	.p2alignl 6, 3212836864
	.fill 256, 4, 3212836864
	.type	_ZL13kvalues_iq4nl,@object      ; @_ZL13kvalues_iq4nl
	.section	.rodata.cst16,"aM",@progbits,16
	.p2align	4, 0x0
_ZL13kvalues_iq4nl:
	.ascii	"\201\230\255\277\317\335\352\366\001\r\031&5EYq"
	.size	_ZL13kvalues_iq4nl, 16

	.type	__hip_cuid_da563cd049626a60,@object ; @__hip_cuid_da563cd049626a60
	.section	.bss,"aw",@nobits
	.globl	__hip_cuid_da563cd049626a60
__hip_cuid_da563cd049626a60:
	.byte	0                               ; 0x0
	.size	__hip_cuid_da563cd049626a60, 1

	.ident	"AMD clang version 19.0.0git (https://github.com/RadeonOpenCompute/llvm-project roc-6.4.0 25133 c7fe45cf4b819c5991fe208aaa96edf142730f1d)"
	.section	".note.GNU-stack","",@progbits
	.addrsig
	.addrsig_sym __hip_cuid_da563cd049626a60
	.amdgpu_metadata
---
amdhsa.kernels:
  - .agpr_count:     0
    .args:
      - .address_space:  global
        .offset:         0
        .size:           8
        .value_kind:     global_buffer
      - .address_space:  global
        .offset:         8
        .size:           8
        .value_kind:     global_buffer
      - .address_space:  global
        .offset:         16
        .size:           8
        .value_kind:     global_buffer
      - .offset:         24
        .size:           8
        .value_kind:     by_value
      - .offset:         32
        .size:           8
        .value_kind:     by_value
      - .offset:         40
        .size:           8
        .value_kind:     by_value
      - .offset:         48
        .size:           8
        .value_kind:     by_value
      - .offset:         56
        .size:           8
        .value_kind:     by_value
      - .offset:         64
        .size:           8
        .value_kind:     by_value
      - .offset:         72
        .size:           8
        .value_kind:     by_value
      - .offset:         80
        .size:           8
        .value_kind:     by_value
      - .offset:         88
        .size:           8
        .value_kind:     by_value
      - .offset:         96
        .size:           8
        .value_kind:     by_value
      - .offset:         104
        .size:           8
        .value_kind:     by_value
      - .offset:         112
        .size:           8
        .value_kind:     by_value
      - .offset:         120
        .size:           8
        .value_kind:     by_value
      - .offset:         128
        .size:           8
        .value_kind:     by_value
      - .offset:         136
        .size:           12
        .value_kind:     by_value
      - .offset:         148
        .size:           12
        .value_kind:     by_value
      - .offset:         160
        .size:           12
        .value_kind:     by_value
      - .offset:         172
        .size:           12
        .value_kind:     by_value
      - .offset:         184
        .size:           12
        .value_kind:     by_value
      - .offset:         200
        .size:           4
        .value_kind:     hidden_block_count_x
      - .offset:         204
        .size:           4
        .value_kind:     hidden_block_count_y
      - .offset:         208
        .size:           4
        .value_kind:     hidden_block_count_z
      - .offset:         212
        .size:           2
        .value_kind:     hidden_group_size_x
      - .offset:         214
        .size:           2
        .value_kind:     hidden_group_size_y
      - .offset:         216
        .size:           2
        .value_kind:     hidden_group_size_z
      - .offset:         218
        .size:           2
        .value_kind:     hidden_remainder_x
      - .offset:         220
        .size:           2
        .value_kind:     hidden_remainder_y
      - .offset:         222
        .size:           2
        .value_kind:     hidden_remainder_z
      - .offset:         240
        .size:           8
        .value_kind:     hidden_global_offset_x
      - .offset:         248
        .size:           8
        .value_kind:     hidden_global_offset_y
      - .offset:         256
        .size:           8
        .value_kind:     hidden_global_offset_z
      - .offset:         264
        .size:           2
        .value_kind:     hidden_grid_dims
    .group_segment_fixed_size: 0
    .kernarg_segment_align: 8
    .kernarg_segment_size: 456
    .language:       OpenCL C
    .language_version:
      - 2
      - 0
    .max_flat_workgroup_size: 1024
    .name:           _ZL10k_set_rowsIflfEvPKT_PKT0_PT1_llllllllllllll15HIP_vector_typeIjLj3EES9_S9_S9_S9_
    .private_segment_fixed_size: 0
    .sgpr_count:     48
    .sgpr_spill_count: 0
    .symbol:         _ZL10k_set_rowsIflfEvPKT_PKT0_PT1_llllllllllllll15HIP_vector_typeIjLj3EES9_S9_S9_S9_.kd
    .uniform_work_group_size: 1
    .uses_dynamic_stack: false
    .vgpr_count:     13
    .vgpr_spill_count: 0
    .wavefront_size: 64
  - .agpr_count:     0
    .args:
      - .address_space:  global
        .offset:         0
        .size:           8
        .value_kind:     global_buffer
      - .address_space:  global
        .offset:         8
        .size:           8
        .value_kind:     global_buffer
      - .address_space:  global
        .offset:         16
        .size:           8
        .value_kind:     global_buffer
      - .offset:         24
        .size:           8
        .value_kind:     by_value
      - .offset:         32
        .size:           8
        .value_kind:     by_value
      - .offset:         40
        .size:           8
        .value_kind:     by_value
      - .offset:         48
        .size:           8
        .value_kind:     by_value
      - .offset:         56
        .size:           8
        .value_kind:     by_value
      - .offset:         64
        .size:           8
        .value_kind:     by_value
      - .offset:         72
        .size:           8
        .value_kind:     by_value
      - .offset:         80
        .size:           8
        .value_kind:     by_value
      - .offset:         88
        .size:           8
        .value_kind:     by_value
      - .offset:         96
        .size:           8
        .value_kind:     by_value
      - .offset:         104
        .size:           8
        .value_kind:     by_value
      - .offset:         112
        .size:           8
        .value_kind:     by_value
      - .offset:         120
        .size:           8
        .value_kind:     by_value
      - .offset:         128
        .size:           8
        .value_kind:     by_value
      - .offset:         136
        .size:           12
        .value_kind:     by_value
      - .offset:         148
        .size:           12
        .value_kind:     by_value
      - .offset:         160
        .size:           12
        .value_kind:     by_value
      - .offset:         172
        .size:           12
        .value_kind:     by_value
      - .offset:         184
        .size:           12
        .value_kind:     by_value
      - .offset:         200
        .size:           4
        .value_kind:     hidden_block_count_x
      - .offset:         204
        .size:           4
        .value_kind:     hidden_block_count_y
      - .offset:         208
        .size:           4
        .value_kind:     hidden_block_count_z
      - .offset:         212
        .size:           2
        .value_kind:     hidden_group_size_x
      - .offset:         214
        .size:           2
        .value_kind:     hidden_group_size_y
      - .offset:         216
        .size:           2
        .value_kind:     hidden_group_size_z
      - .offset:         218
        .size:           2
        .value_kind:     hidden_remainder_x
      - .offset:         220
        .size:           2
        .value_kind:     hidden_remainder_y
      - .offset:         222
        .size:           2
        .value_kind:     hidden_remainder_z
      - .offset:         240
        .size:           8
        .value_kind:     hidden_global_offset_x
      - .offset:         248
        .size:           8
        .value_kind:     hidden_global_offset_y
      - .offset:         256
        .size:           8
        .value_kind:     hidden_global_offset_z
      - .offset:         264
        .size:           2
        .value_kind:     hidden_grid_dims
    .group_segment_fixed_size: 0
    .kernarg_segment_align: 8
    .kernarg_segment_size: 456
    .language:       OpenCL C
    .language_version:
      - 2
      - 0
    .max_flat_workgroup_size: 1024
    .name:           _ZL10k_set_rowsIfl6__halfEvPKT_PKT0_PT1_llllllllllllll15HIP_vector_typeIjLj3EESA_SA_SA_SA_
    .private_segment_fixed_size: 0
    .sgpr_count:     48
    .sgpr_spill_count: 0
    .symbol:         _ZL10k_set_rowsIfl6__halfEvPKT_PKT0_PT1_llllllllllllll15HIP_vector_typeIjLj3EESA_SA_SA_SA_.kd
    .uniform_work_group_size: 1
    .uses_dynamic_stack: false
    .vgpr_count:     13
    .vgpr_spill_count: 0
    .wavefront_size: 64
  - .agpr_count:     0
    .args:
      - .address_space:  global
        .offset:         0
        .size:           8
        .value_kind:     global_buffer
      - .address_space:  global
        .offset:         8
        .size:           8
        .value_kind:     global_buffer
      - .address_space:  global
        .offset:         16
        .size:           8
        .value_kind:     global_buffer
      - .offset:         24
        .size:           8
        .value_kind:     by_value
      - .offset:         32
        .size:           8
        .value_kind:     by_value
      - .offset:         40
        .size:           8
        .value_kind:     by_value
      - .offset:         48
        .size:           8
        .value_kind:     by_value
      - .offset:         56
        .size:           8
        .value_kind:     by_value
      - .offset:         64
        .size:           8
        .value_kind:     by_value
      - .offset:         72
        .size:           8
        .value_kind:     by_value
      - .offset:         80
        .size:           8
        .value_kind:     by_value
      - .offset:         88
        .size:           8
        .value_kind:     by_value
      - .offset:         96
        .size:           8
        .value_kind:     by_value
      - .offset:         104
        .size:           8
        .value_kind:     by_value
      - .offset:         112
        .size:           8
        .value_kind:     by_value
      - .offset:         120
        .size:           8
        .value_kind:     by_value
      - .offset:         128
        .size:           8
        .value_kind:     by_value
      - .offset:         136
        .size:           12
        .value_kind:     by_value
      - .offset:         148
        .size:           12
        .value_kind:     by_value
      - .offset:         160
        .size:           12
        .value_kind:     by_value
      - .offset:         172
        .size:           12
        .value_kind:     by_value
      - .offset:         184
        .size:           12
        .value_kind:     by_value
      - .offset:         200
        .size:           4
        .value_kind:     hidden_block_count_x
      - .offset:         204
        .size:           4
        .value_kind:     hidden_block_count_y
      - .offset:         208
        .size:           4
        .value_kind:     hidden_block_count_z
      - .offset:         212
        .size:           2
        .value_kind:     hidden_group_size_x
      - .offset:         214
        .size:           2
        .value_kind:     hidden_group_size_y
      - .offset:         216
        .size:           2
        .value_kind:     hidden_group_size_z
      - .offset:         218
        .size:           2
        .value_kind:     hidden_remainder_x
      - .offset:         220
        .size:           2
        .value_kind:     hidden_remainder_y
      - .offset:         222
        .size:           2
        .value_kind:     hidden_remainder_z
      - .offset:         240
        .size:           8
        .value_kind:     hidden_global_offset_x
      - .offset:         248
        .size:           8
        .value_kind:     hidden_global_offset_y
      - .offset:         256
        .size:           8
        .value_kind:     hidden_global_offset_z
      - .offset:         264
        .size:           2
        .value_kind:     hidden_grid_dims
    .group_segment_fixed_size: 0
    .kernarg_segment_align: 8
    .kernarg_segment_size: 456
    .language:       OpenCL C
    .language_version:
      - 2
      - 0
    .max_flat_workgroup_size: 1024
    .name:           _ZL10k_set_rowsIfl14__hip_bfloat16EvPKT_PKT0_PT1_llllllllllllll15HIP_vector_typeIjLj3EESA_SA_SA_SA_
    .private_segment_fixed_size: 0
    .sgpr_count:     48
    .sgpr_spill_count: 0
    .symbol:         _ZL10k_set_rowsIfl14__hip_bfloat16EvPKT_PKT0_PT1_llllllllllllll15HIP_vector_typeIjLj3EESA_SA_SA_SA_.kd
    .uniform_work_group_size: 1
    .uses_dynamic_stack: false
    .vgpr_count:     14
    .vgpr_spill_count: 0
    .wavefront_size: 64
  - .agpr_count:     0
    .args:
      - .actual_access:  read_only
        .address_space:  global
        .offset:         0
        .size:           8
        .value_kind:     global_buffer
      - .actual_access:  read_only
        .address_space:  global
        .offset:         8
        .size:           8
        .value_kind:     global_buffer
      - .actual_access:  write_only
        .address_space:  global
        .offset:         16
        .size:           8
        .value_kind:     global_buffer
      - .offset:         24
        .size:           8
        .value_kind:     by_value
      - .offset:         32
        .size:           8
        .value_kind:     by_value
      - .offset:         40
        .size:           8
        .value_kind:     by_value
      - .offset:         48
        .size:           8
        .value_kind:     by_value
      - .offset:         56
        .size:           8
        .value_kind:     by_value
      - .offset:         64
        .size:           8
        .value_kind:     by_value
      - .offset:         72
        .size:           8
        .value_kind:     by_value
      - .offset:         80
        .size:           8
        .value_kind:     by_value
      - .offset:         88
        .size:           8
        .value_kind:     by_value
      - .offset:         96
        .size:           8
        .value_kind:     by_value
      - .offset:         104
        .size:           8
        .value_kind:     by_value
      - .offset:         112
        .size:           8
        .value_kind:     by_value
      - .offset:         120
        .size:           8
        .value_kind:     by_value
      - .offset:         128
        .size:           8
        .value_kind:     by_value
      - .offset:         136
        .size:           12
        .value_kind:     by_value
      - .offset:         148
        .size:           12
        .value_kind:     by_value
      - .offset:         160
        .size:           12
        .value_kind:     by_value
      - .offset:         172
        .size:           12
        .value_kind:     by_value
      - .offset:         184
        .size:           12
        .value_kind:     by_value
      - .offset:         200
        .size:           4
        .value_kind:     hidden_block_count_x
      - .offset:         204
        .size:           4
        .value_kind:     hidden_block_count_y
      - .offset:         208
        .size:           4
        .value_kind:     hidden_block_count_z
      - .offset:         212
        .size:           2
        .value_kind:     hidden_group_size_x
      - .offset:         214
        .size:           2
        .value_kind:     hidden_group_size_y
      - .offset:         216
        .size:           2
        .value_kind:     hidden_group_size_z
      - .offset:         218
        .size:           2
        .value_kind:     hidden_remainder_x
      - .offset:         220
        .size:           2
        .value_kind:     hidden_remainder_y
      - .offset:         222
        .size:           2
        .value_kind:     hidden_remainder_z
      - .offset:         240
        .size:           8
        .value_kind:     hidden_global_offset_x
      - .offset:         248
        .size:           8
        .value_kind:     hidden_global_offset_y
      - .offset:         256
        .size:           8
        .value_kind:     hidden_global_offset_z
      - .offset:         264
        .size:           2
        .value_kind:     hidden_grid_dims
    .group_segment_fixed_size: 0
    .kernarg_segment_align: 8
    .kernarg_segment_size: 456
    .language:       OpenCL C
    .language_version:
      - 2
      - 0
    .max_flat_workgroup_size: 1024
    .name:           _ZL16k_set_rows_quantIl10block_q4_0Li32ETnPFvPKfPT0_EXadL_ZL23quantize_f32_q4_0_blockS2_PS0_EEEvS2_PKT_S4_llllllllllllll15HIP_vector_typeIjLj3EESC_SC_SC_SC_
    .private_segment_fixed_size: 0
    .sgpr_count:     44
    .sgpr_spill_count: 0
    .symbol:         _ZL16k_set_rows_quantIl10block_q4_0Li32ETnPFvPKfPT0_EXadL_ZL23quantize_f32_q4_0_blockS2_PS0_EEEvS2_PKT_S4_llllllllllllll15HIP_vector_typeIjLj3EESC_SC_SC_SC_.kd
    .uniform_work_group_size: 1
    .uses_dynamic_stack: false
    .vgpr_count:     41
    .vgpr_spill_count: 0
    .wavefront_size: 64
  - .agpr_count:     0
    .args:
      - .actual_access:  read_only
        .address_space:  global
        .offset:         0
        .size:           8
        .value_kind:     global_buffer
      - .actual_access:  read_only
        .address_space:  global
        .offset:         8
        .size:           8
        .value_kind:     global_buffer
      - .actual_access:  write_only
        .address_space:  global
        .offset:         16
        .size:           8
        .value_kind:     global_buffer
      - .offset:         24
        .size:           8
        .value_kind:     by_value
      - .offset:         32
        .size:           8
        .value_kind:     by_value
      - .offset:         40
        .size:           8
        .value_kind:     by_value
      - .offset:         48
        .size:           8
        .value_kind:     by_value
      - .offset:         56
        .size:           8
        .value_kind:     by_value
      - .offset:         64
        .size:           8
        .value_kind:     by_value
      - .offset:         72
        .size:           8
        .value_kind:     by_value
      - .offset:         80
        .size:           8
        .value_kind:     by_value
      - .offset:         88
        .size:           8
        .value_kind:     by_value
      - .offset:         96
        .size:           8
        .value_kind:     by_value
      - .offset:         104
        .size:           8
        .value_kind:     by_value
      - .offset:         112
        .size:           8
        .value_kind:     by_value
      - .offset:         120
        .size:           8
        .value_kind:     by_value
      - .offset:         128
        .size:           8
        .value_kind:     by_value
      - .offset:         136
        .size:           12
        .value_kind:     by_value
      - .offset:         148
        .size:           12
        .value_kind:     by_value
      - .offset:         160
        .size:           12
        .value_kind:     by_value
      - .offset:         172
        .size:           12
        .value_kind:     by_value
      - .offset:         184
        .size:           12
        .value_kind:     by_value
      - .offset:         200
        .size:           4
        .value_kind:     hidden_block_count_x
      - .offset:         204
        .size:           4
        .value_kind:     hidden_block_count_y
      - .offset:         208
        .size:           4
        .value_kind:     hidden_block_count_z
      - .offset:         212
        .size:           2
        .value_kind:     hidden_group_size_x
      - .offset:         214
        .size:           2
        .value_kind:     hidden_group_size_y
      - .offset:         216
        .size:           2
        .value_kind:     hidden_group_size_z
      - .offset:         218
        .size:           2
        .value_kind:     hidden_remainder_x
      - .offset:         220
        .size:           2
        .value_kind:     hidden_remainder_y
      - .offset:         222
        .size:           2
        .value_kind:     hidden_remainder_z
      - .offset:         240
        .size:           8
        .value_kind:     hidden_global_offset_x
      - .offset:         248
        .size:           8
        .value_kind:     hidden_global_offset_y
      - .offset:         256
        .size:           8
        .value_kind:     hidden_global_offset_z
      - .offset:         264
        .size:           2
        .value_kind:     hidden_grid_dims
    .group_segment_fixed_size: 0
    .kernarg_segment_align: 8
    .kernarg_segment_size: 456
    .language:       OpenCL C
    .language_version:
      - 2
      - 0
    .max_flat_workgroup_size: 1024
    .name:           _ZL16k_set_rows_quantIl10block_q4_1Li32ETnPFvPKfPT0_EXadL_ZL23quantize_f32_q4_1_blockS2_PS0_EEEvS2_PKT_S4_llllllllllllll15HIP_vector_typeIjLj3EESC_SC_SC_SC_
    .private_segment_fixed_size: 0
    .sgpr_count:     44
    .sgpr_spill_count: 0
    .symbol:         _ZL16k_set_rows_quantIl10block_q4_1Li32ETnPFvPKfPT0_EXadL_ZL23quantize_f32_q4_1_blockS2_PS0_EEEvS2_PKT_S4_llllllllllllll15HIP_vector_typeIjLj3EESC_SC_SC_SC_.kd
    .uniform_work_group_size: 1
    .uses_dynamic_stack: false
    .vgpr_count:     42
    .vgpr_spill_count: 0
    .wavefront_size: 64
  - .agpr_count:     0
    .args:
      - .actual_access:  read_only
        .address_space:  global
        .offset:         0
        .size:           8
        .value_kind:     global_buffer
      - .actual_access:  read_only
        .address_space:  global
        .offset:         8
        .size:           8
        .value_kind:     global_buffer
      - .actual_access:  write_only
        .address_space:  global
        .offset:         16
        .size:           8
        .value_kind:     global_buffer
      - .offset:         24
        .size:           8
        .value_kind:     by_value
      - .offset:         32
        .size:           8
        .value_kind:     by_value
      - .offset:         40
        .size:           8
        .value_kind:     by_value
      - .offset:         48
        .size:           8
        .value_kind:     by_value
      - .offset:         56
        .size:           8
        .value_kind:     by_value
      - .offset:         64
        .size:           8
        .value_kind:     by_value
      - .offset:         72
        .size:           8
        .value_kind:     by_value
      - .offset:         80
        .size:           8
        .value_kind:     by_value
      - .offset:         88
        .size:           8
        .value_kind:     by_value
      - .offset:         96
        .size:           8
        .value_kind:     by_value
      - .offset:         104
        .size:           8
        .value_kind:     by_value
      - .offset:         112
        .size:           8
        .value_kind:     by_value
      - .offset:         120
        .size:           8
        .value_kind:     by_value
      - .offset:         128
        .size:           8
        .value_kind:     by_value
      - .offset:         136
        .size:           12
        .value_kind:     by_value
      - .offset:         148
        .size:           12
        .value_kind:     by_value
      - .offset:         160
        .size:           12
        .value_kind:     by_value
      - .offset:         172
        .size:           12
        .value_kind:     by_value
      - .offset:         184
        .size:           12
        .value_kind:     by_value
      - .offset:         200
        .size:           4
        .value_kind:     hidden_block_count_x
      - .offset:         204
        .size:           4
        .value_kind:     hidden_block_count_y
      - .offset:         208
        .size:           4
        .value_kind:     hidden_block_count_z
      - .offset:         212
        .size:           2
        .value_kind:     hidden_group_size_x
      - .offset:         214
        .size:           2
        .value_kind:     hidden_group_size_y
      - .offset:         216
        .size:           2
        .value_kind:     hidden_group_size_z
      - .offset:         218
        .size:           2
        .value_kind:     hidden_remainder_x
      - .offset:         220
        .size:           2
        .value_kind:     hidden_remainder_y
      - .offset:         222
        .size:           2
        .value_kind:     hidden_remainder_z
      - .offset:         240
        .size:           8
        .value_kind:     hidden_global_offset_x
      - .offset:         248
        .size:           8
        .value_kind:     hidden_global_offset_y
      - .offset:         256
        .size:           8
        .value_kind:     hidden_global_offset_z
      - .offset:         264
        .size:           2
        .value_kind:     hidden_grid_dims
    .group_segment_fixed_size: 0
    .kernarg_segment_align: 8
    .kernarg_segment_size: 456
    .language:       OpenCL C
    .language_version:
      - 2
      - 0
    .max_flat_workgroup_size: 1024
    .name:           _ZL16k_set_rows_quantIl10block_q5_0Li32ETnPFvPKfPT0_EXadL_ZL23quantize_f32_q5_0_blockS2_PS0_EEEvS2_PKT_S4_llllllllllllll15HIP_vector_typeIjLj3EESC_SC_SC_SC_
    .private_segment_fixed_size: 0
    .sgpr_count:     44
    .sgpr_spill_count: 0
    .symbol:         _ZL16k_set_rows_quantIl10block_q5_0Li32ETnPFvPKfPT0_EXadL_ZL23quantize_f32_q5_0_blockS2_PS0_EEEvS2_PKT_S4_llllllllllllll15HIP_vector_typeIjLj3EESC_SC_SC_SC_.kd
    .uniform_work_group_size: 1
    .uses_dynamic_stack: false
    .vgpr_count:     49
    .vgpr_spill_count: 0
    .wavefront_size: 64
  - .agpr_count:     0
    .args:
      - .actual_access:  read_only
        .address_space:  global
        .offset:         0
        .size:           8
        .value_kind:     global_buffer
      - .actual_access:  read_only
        .address_space:  global
        .offset:         8
        .size:           8
        .value_kind:     global_buffer
      - .actual_access:  write_only
        .address_space:  global
        .offset:         16
        .size:           8
        .value_kind:     global_buffer
      - .offset:         24
        .size:           8
        .value_kind:     by_value
      - .offset:         32
        .size:           8
        .value_kind:     by_value
      - .offset:         40
        .size:           8
        .value_kind:     by_value
      - .offset:         48
        .size:           8
        .value_kind:     by_value
      - .offset:         56
        .size:           8
        .value_kind:     by_value
      - .offset:         64
        .size:           8
        .value_kind:     by_value
      - .offset:         72
        .size:           8
        .value_kind:     by_value
      - .offset:         80
        .size:           8
        .value_kind:     by_value
      - .offset:         88
        .size:           8
        .value_kind:     by_value
      - .offset:         96
        .size:           8
        .value_kind:     by_value
      - .offset:         104
        .size:           8
        .value_kind:     by_value
      - .offset:         112
        .size:           8
        .value_kind:     by_value
      - .offset:         120
        .size:           8
        .value_kind:     by_value
      - .offset:         128
        .size:           8
        .value_kind:     by_value
      - .offset:         136
        .size:           12
        .value_kind:     by_value
      - .offset:         148
        .size:           12
        .value_kind:     by_value
      - .offset:         160
        .size:           12
        .value_kind:     by_value
      - .offset:         172
        .size:           12
        .value_kind:     by_value
      - .offset:         184
        .size:           12
        .value_kind:     by_value
      - .offset:         200
        .size:           4
        .value_kind:     hidden_block_count_x
      - .offset:         204
        .size:           4
        .value_kind:     hidden_block_count_y
      - .offset:         208
        .size:           4
        .value_kind:     hidden_block_count_z
      - .offset:         212
        .size:           2
        .value_kind:     hidden_group_size_x
      - .offset:         214
        .size:           2
        .value_kind:     hidden_group_size_y
      - .offset:         216
        .size:           2
        .value_kind:     hidden_group_size_z
      - .offset:         218
        .size:           2
        .value_kind:     hidden_remainder_x
      - .offset:         220
        .size:           2
        .value_kind:     hidden_remainder_y
      - .offset:         222
        .size:           2
        .value_kind:     hidden_remainder_z
      - .offset:         240
        .size:           8
        .value_kind:     hidden_global_offset_x
      - .offset:         248
        .size:           8
        .value_kind:     hidden_global_offset_y
      - .offset:         256
        .size:           8
        .value_kind:     hidden_global_offset_z
      - .offset:         264
        .size:           2
        .value_kind:     hidden_grid_dims
    .group_segment_fixed_size: 0
    .kernarg_segment_align: 8
    .kernarg_segment_size: 456
    .language:       OpenCL C
    .language_version:
      - 2
      - 0
    .max_flat_workgroup_size: 1024
    .name:           _ZL16k_set_rows_quantIl10block_q5_1Li32ETnPFvPKfPT0_EXadL_ZL23quantize_f32_q5_1_blockS2_PS0_EEEvS2_PKT_S4_llllllllllllll15HIP_vector_typeIjLj3EESC_SC_SC_SC_
    .private_segment_fixed_size: 0
    .sgpr_count:     44
    .sgpr_spill_count: 0
    .symbol:         _ZL16k_set_rows_quantIl10block_q5_1Li32ETnPFvPKfPT0_EXadL_ZL23quantize_f32_q5_1_blockS2_PS0_EEEvS2_PKT_S4_llllllllllllll15HIP_vector_typeIjLj3EESC_SC_SC_SC_.kd
    .uniform_work_group_size: 1
    .uses_dynamic_stack: false
    .vgpr_count:     46
    .vgpr_spill_count: 0
    .wavefront_size: 64
  - .agpr_count:     0
    .args:
      - .actual_access:  read_only
        .address_space:  global
        .offset:         0
        .size:           8
        .value_kind:     global_buffer
      - .actual_access:  read_only
        .address_space:  global
        .offset:         8
        .size:           8
        .value_kind:     global_buffer
      - .actual_access:  write_only
        .address_space:  global
        .offset:         16
        .size:           8
        .value_kind:     global_buffer
      - .offset:         24
        .size:           8
        .value_kind:     by_value
      - .offset:         32
        .size:           8
        .value_kind:     by_value
      - .offset:         40
        .size:           8
        .value_kind:     by_value
      - .offset:         48
        .size:           8
        .value_kind:     by_value
      - .offset:         56
        .size:           8
        .value_kind:     by_value
      - .offset:         64
        .size:           8
        .value_kind:     by_value
      - .offset:         72
        .size:           8
        .value_kind:     by_value
      - .offset:         80
        .size:           8
        .value_kind:     by_value
      - .offset:         88
        .size:           8
        .value_kind:     by_value
      - .offset:         96
        .size:           8
        .value_kind:     by_value
      - .offset:         104
        .size:           8
        .value_kind:     by_value
      - .offset:         112
        .size:           8
        .value_kind:     by_value
      - .offset:         120
        .size:           8
        .value_kind:     by_value
      - .offset:         128
        .size:           8
        .value_kind:     by_value
      - .offset:         136
        .size:           12
        .value_kind:     by_value
      - .offset:         148
        .size:           12
        .value_kind:     by_value
      - .offset:         160
        .size:           12
        .value_kind:     by_value
      - .offset:         172
        .size:           12
        .value_kind:     by_value
      - .offset:         184
        .size:           12
        .value_kind:     by_value
      - .offset:         200
        .size:           4
        .value_kind:     hidden_block_count_x
      - .offset:         204
        .size:           4
        .value_kind:     hidden_block_count_y
      - .offset:         208
        .size:           4
        .value_kind:     hidden_block_count_z
      - .offset:         212
        .size:           2
        .value_kind:     hidden_group_size_x
      - .offset:         214
        .size:           2
        .value_kind:     hidden_group_size_y
      - .offset:         216
        .size:           2
        .value_kind:     hidden_group_size_z
      - .offset:         218
        .size:           2
        .value_kind:     hidden_remainder_x
      - .offset:         220
        .size:           2
        .value_kind:     hidden_remainder_y
      - .offset:         222
        .size:           2
        .value_kind:     hidden_remainder_z
      - .offset:         240
        .size:           8
        .value_kind:     hidden_global_offset_x
      - .offset:         248
        .size:           8
        .value_kind:     hidden_global_offset_y
      - .offset:         256
        .size:           8
        .value_kind:     hidden_global_offset_z
      - .offset:         264
        .size:           2
        .value_kind:     hidden_grid_dims
    .group_segment_fixed_size: 0
    .kernarg_segment_align: 8
    .kernarg_segment_size: 456
    .language:       OpenCL C
    .language_version:
      - 2
      - 0
    .max_flat_workgroup_size: 1024
    .name:           _ZL16k_set_rows_quantIl10block_q8_0Li32ETnPFvPKfPT0_EXadL_ZL23quantize_f32_q8_0_blockS2_PS0_EEEvS2_PKT_S4_llllllllllllll15HIP_vector_typeIjLj3EESC_SC_SC_SC_
    .private_segment_fixed_size: 0
    .sgpr_count:     44
    .sgpr_spill_count: 0
    .symbol:         _ZL16k_set_rows_quantIl10block_q8_0Li32ETnPFvPKfPT0_EXadL_ZL23quantize_f32_q8_0_blockS2_PS0_EEEvS2_PKT_S4_llllllllllllll15HIP_vector_typeIjLj3EESC_SC_SC_SC_.kd
    .uniform_work_group_size: 1
    .uses_dynamic_stack: false
    .vgpr_count:     42
    .vgpr_spill_count: 0
    .wavefront_size: 64
  - .agpr_count:     0
    .args:
      - .actual_access:  read_only
        .address_space:  global
        .offset:         0
        .size:           8
        .value_kind:     global_buffer
      - .actual_access:  read_only
        .address_space:  global
        .offset:         8
        .size:           8
        .value_kind:     global_buffer
      - .actual_access:  write_only
        .address_space:  global
        .offset:         16
        .size:           8
        .value_kind:     global_buffer
      - .offset:         24
        .size:           8
        .value_kind:     by_value
      - .offset:         32
        .size:           8
        .value_kind:     by_value
      - .offset:         40
        .size:           8
        .value_kind:     by_value
      - .offset:         48
        .size:           8
        .value_kind:     by_value
      - .offset:         56
        .size:           8
        .value_kind:     by_value
      - .offset:         64
        .size:           8
        .value_kind:     by_value
      - .offset:         72
        .size:           8
        .value_kind:     by_value
      - .offset:         80
        .size:           8
        .value_kind:     by_value
      - .offset:         88
        .size:           8
        .value_kind:     by_value
      - .offset:         96
        .size:           8
        .value_kind:     by_value
      - .offset:         104
        .size:           8
        .value_kind:     by_value
      - .offset:         112
        .size:           8
        .value_kind:     by_value
      - .offset:         120
        .size:           8
        .value_kind:     by_value
      - .offset:         128
        .size:           8
        .value_kind:     by_value
      - .offset:         136
        .size:           12
        .value_kind:     by_value
      - .offset:         148
        .size:           12
        .value_kind:     by_value
      - .offset:         160
        .size:           12
        .value_kind:     by_value
      - .offset:         172
        .size:           12
        .value_kind:     by_value
      - .offset:         184
        .size:           12
        .value_kind:     by_value
      - .offset:         200
        .size:           4
        .value_kind:     hidden_block_count_x
      - .offset:         204
        .size:           4
        .value_kind:     hidden_block_count_y
      - .offset:         208
        .size:           4
        .value_kind:     hidden_block_count_z
      - .offset:         212
        .size:           2
        .value_kind:     hidden_group_size_x
      - .offset:         214
        .size:           2
        .value_kind:     hidden_group_size_y
      - .offset:         216
        .size:           2
        .value_kind:     hidden_group_size_z
      - .offset:         218
        .size:           2
        .value_kind:     hidden_remainder_x
      - .offset:         220
        .size:           2
        .value_kind:     hidden_remainder_y
      - .offset:         222
        .size:           2
        .value_kind:     hidden_remainder_z
      - .offset:         240
        .size:           8
        .value_kind:     hidden_global_offset_x
      - .offset:         248
        .size:           8
        .value_kind:     hidden_global_offset_y
      - .offset:         256
        .size:           8
        .value_kind:     hidden_global_offset_z
      - .offset:         264
        .size:           2
        .value_kind:     hidden_grid_dims
    .group_segment_fixed_size: 0
    .kernarg_segment_align: 8
    .kernarg_segment_size: 456
    .language:       OpenCL C
    .language_version:
      - 2
      - 0
    .max_flat_workgroup_size: 1024
    .name:           _ZL16k_set_rows_quantIl12block_iq4_nlLi32ETnPFvPKfPT0_EXadL_ZL25quantize_f32_iq4_nl_blockS2_PS0_EEEvS2_PKT_S4_llllllllllllll15HIP_vector_typeIjLj3EESC_SC_SC_SC_
    .private_segment_fixed_size: 0
    .sgpr_count:     44
    .sgpr_spill_count: 0
    .symbol:         _ZL16k_set_rows_quantIl12block_iq4_nlLi32ETnPFvPKfPT0_EXadL_ZL25quantize_f32_iq4_nl_blockS2_PS0_EEEvS2_PKT_S4_llllllllllllll15HIP_vector_typeIjLj3EESC_SC_SC_SC_.kd
    .uniform_work_group_size: 1
    .uses_dynamic_stack: false
    .vgpr_count:     42
    .vgpr_spill_count: 0
    .wavefront_size: 64
  - .agpr_count:     0
    .args:
      - .address_space:  global
        .offset:         0
        .size:           8
        .value_kind:     global_buffer
      - .address_space:  global
        .offset:         8
        .size:           8
        .value_kind:     global_buffer
      - .address_space:  global
        .offset:         16
        .size:           8
        .value_kind:     global_buffer
      - .offset:         24
        .size:           8
        .value_kind:     by_value
      - .offset:         32
        .size:           8
        .value_kind:     by_value
      - .offset:         40
        .size:           8
        .value_kind:     by_value
      - .offset:         48
        .size:           8
        .value_kind:     by_value
      - .offset:         56
        .size:           8
        .value_kind:     by_value
      - .offset:         64
        .size:           8
        .value_kind:     by_value
      - .offset:         72
        .size:           8
        .value_kind:     by_value
      - .offset:         80
        .size:           8
        .value_kind:     by_value
      - .offset:         88
        .size:           8
        .value_kind:     by_value
      - .offset:         96
        .size:           8
        .value_kind:     by_value
      - .offset:         104
        .size:           8
        .value_kind:     by_value
      - .offset:         112
        .size:           8
        .value_kind:     by_value
      - .offset:         120
        .size:           8
        .value_kind:     by_value
      - .offset:         128
        .size:           8
        .value_kind:     by_value
      - .offset:         136
        .size:           12
        .value_kind:     by_value
      - .offset:         148
        .size:           12
        .value_kind:     by_value
      - .offset:         160
        .size:           12
        .value_kind:     by_value
      - .offset:         172
        .size:           12
        .value_kind:     by_value
      - .offset:         184
        .size:           12
        .value_kind:     by_value
      - .offset:         200
        .size:           4
        .value_kind:     hidden_block_count_x
      - .offset:         204
        .size:           4
        .value_kind:     hidden_block_count_y
      - .offset:         208
        .size:           4
        .value_kind:     hidden_block_count_z
      - .offset:         212
        .size:           2
        .value_kind:     hidden_group_size_x
      - .offset:         214
        .size:           2
        .value_kind:     hidden_group_size_y
      - .offset:         216
        .size:           2
        .value_kind:     hidden_group_size_z
      - .offset:         218
        .size:           2
        .value_kind:     hidden_remainder_x
      - .offset:         220
        .size:           2
        .value_kind:     hidden_remainder_y
      - .offset:         222
        .size:           2
        .value_kind:     hidden_remainder_z
      - .offset:         240
        .size:           8
        .value_kind:     hidden_global_offset_x
      - .offset:         248
        .size:           8
        .value_kind:     hidden_global_offset_y
      - .offset:         256
        .size:           8
        .value_kind:     hidden_global_offset_z
      - .offset:         264
        .size:           2
        .value_kind:     hidden_grid_dims
    .group_segment_fixed_size: 0
    .kernarg_segment_align: 8
    .kernarg_segment_size: 456
    .language:       OpenCL C
    .language_version:
      - 2
      - 0
    .max_flat_workgroup_size: 1024
    .name:           _ZL10k_set_rowsIfifEvPKT_PKT0_PT1_llllllllllllll15HIP_vector_typeIjLj3EES9_S9_S9_S9_
    .private_segment_fixed_size: 0
    .sgpr_count:     48
    .sgpr_spill_count: 0
    .symbol:         _ZL10k_set_rowsIfifEvPKT_PKT0_PT1_llllllllllllll15HIP_vector_typeIjLj3EES9_S9_S9_S9_.kd
    .uniform_work_group_size: 1
    .uses_dynamic_stack: false
    .vgpr_count:     13
    .vgpr_spill_count: 0
    .wavefront_size: 64
  - .agpr_count:     0
    .args:
      - .address_space:  global
        .offset:         0
        .size:           8
        .value_kind:     global_buffer
      - .address_space:  global
        .offset:         8
        .size:           8
        .value_kind:     global_buffer
      - .address_space:  global
        .offset:         16
        .size:           8
        .value_kind:     global_buffer
      - .offset:         24
        .size:           8
        .value_kind:     by_value
      - .offset:         32
        .size:           8
        .value_kind:     by_value
      - .offset:         40
        .size:           8
        .value_kind:     by_value
      - .offset:         48
        .size:           8
        .value_kind:     by_value
      - .offset:         56
        .size:           8
        .value_kind:     by_value
      - .offset:         64
        .size:           8
        .value_kind:     by_value
      - .offset:         72
        .size:           8
        .value_kind:     by_value
      - .offset:         80
        .size:           8
        .value_kind:     by_value
      - .offset:         88
        .size:           8
        .value_kind:     by_value
      - .offset:         96
        .size:           8
        .value_kind:     by_value
      - .offset:         104
        .size:           8
        .value_kind:     by_value
      - .offset:         112
        .size:           8
        .value_kind:     by_value
      - .offset:         120
        .size:           8
        .value_kind:     by_value
      - .offset:         128
        .size:           8
        .value_kind:     by_value
      - .offset:         136
        .size:           12
        .value_kind:     by_value
      - .offset:         148
        .size:           12
        .value_kind:     by_value
      - .offset:         160
        .size:           12
        .value_kind:     by_value
      - .offset:         172
        .size:           12
        .value_kind:     by_value
      - .offset:         184
        .size:           12
        .value_kind:     by_value
      - .offset:         200
        .size:           4
        .value_kind:     hidden_block_count_x
      - .offset:         204
        .size:           4
        .value_kind:     hidden_block_count_y
      - .offset:         208
        .size:           4
        .value_kind:     hidden_block_count_z
      - .offset:         212
        .size:           2
        .value_kind:     hidden_group_size_x
      - .offset:         214
        .size:           2
        .value_kind:     hidden_group_size_y
      - .offset:         216
        .size:           2
        .value_kind:     hidden_group_size_z
      - .offset:         218
        .size:           2
        .value_kind:     hidden_remainder_x
      - .offset:         220
        .size:           2
        .value_kind:     hidden_remainder_y
      - .offset:         222
        .size:           2
        .value_kind:     hidden_remainder_z
      - .offset:         240
        .size:           8
        .value_kind:     hidden_global_offset_x
      - .offset:         248
        .size:           8
        .value_kind:     hidden_global_offset_y
      - .offset:         256
        .size:           8
        .value_kind:     hidden_global_offset_z
      - .offset:         264
        .size:           2
        .value_kind:     hidden_grid_dims
    .group_segment_fixed_size: 0
    .kernarg_segment_align: 8
    .kernarg_segment_size: 456
    .language:       OpenCL C
    .language_version:
      - 2
      - 0
    .max_flat_workgroup_size: 1024
    .name:           _ZL10k_set_rowsIfi6__halfEvPKT_PKT0_PT1_llllllllllllll15HIP_vector_typeIjLj3EESA_SA_SA_SA_
    .private_segment_fixed_size: 0
    .sgpr_count:     48
    .sgpr_spill_count: 0
    .symbol:         _ZL10k_set_rowsIfi6__halfEvPKT_PKT0_PT1_llllllllllllll15HIP_vector_typeIjLj3EESA_SA_SA_SA_.kd
    .uniform_work_group_size: 1
    .uses_dynamic_stack: false
    .vgpr_count:     13
    .vgpr_spill_count: 0
    .wavefront_size: 64
  - .agpr_count:     0
    .args:
      - .address_space:  global
        .offset:         0
        .size:           8
        .value_kind:     global_buffer
      - .address_space:  global
        .offset:         8
        .size:           8
        .value_kind:     global_buffer
      - .address_space:  global
        .offset:         16
        .size:           8
        .value_kind:     global_buffer
      - .offset:         24
        .size:           8
        .value_kind:     by_value
      - .offset:         32
        .size:           8
        .value_kind:     by_value
      - .offset:         40
        .size:           8
        .value_kind:     by_value
      - .offset:         48
        .size:           8
        .value_kind:     by_value
      - .offset:         56
        .size:           8
        .value_kind:     by_value
      - .offset:         64
        .size:           8
        .value_kind:     by_value
      - .offset:         72
        .size:           8
        .value_kind:     by_value
      - .offset:         80
        .size:           8
        .value_kind:     by_value
      - .offset:         88
        .size:           8
        .value_kind:     by_value
      - .offset:         96
        .size:           8
        .value_kind:     by_value
      - .offset:         104
        .size:           8
        .value_kind:     by_value
      - .offset:         112
        .size:           8
        .value_kind:     by_value
      - .offset:         120
        .size:           8
        .value_kind:     by_value
      - .offset:         128
        .size:           8
        .value_kind:     by_value
      - .offset:         136
        .size:           12
        .value_kind:     by_value
      - .offset:         148
        .size:           12
        .value_kind:     by_value
      - .offset:         160
        .size:           12
        .value_kind:     by_value
      - .offset:         172
        .size:           12
        .value_kind:     by_value
      - .offset:         184
        .size:           12
        .value_kind:     by_value
      - .offset:         200
        .size:           4
        .value_kind:     hidden_block_count_x
      - .offset:         204
        .size:           4
        .value_kind:     hidden_block_count_y
      - .offset:         208
        .size:           4
        .value_kind:     hidden_block_count_z
      - .offset:         212
        .size:           2
        .value_kind:     hidden_group_size_x
      - .offset:         214
        .size:           2
        .value_kind:     hidden_group_size_y
      - .offset:         216
        .size:           2
        .value_kind:     hidden_group_size_z
      - .offset:         218
        .size:           2
        .value_kind:     hidden_remainder_x
      - .offset:         220
        .size:           2
        .value_kind:     hidden_remainder_y
      - .offset:         222
        .size:           2
        .value_kind:     hidden_remainder_z
      - .offset:         240
        .size:           8
        .value_kind:     hidden_global_offset_x
      - .offset:         248
        .size:           8
        .value_kind:     hidden_global_offset_y
      - .offset:         256
        .size:           8
        .value_kind:     hidden_global_offset_z
      - .offset:         264
        .size:           2
        .value_kind:     hidden_grid_dims
    .group_segment_fixed_size: 0
    .kernarg_segment_align: 8
    .kernarg_segment_size: 456
    .language:       OpenCL C
    .language_version:
      - 2
      - 0
    .max_flat_workgroup_size: 1024
    .name:           _ZL10k_set_rowsIfi14__hip_bfloat16EvPKT_PKT0_PT1_llllllllllllll15HIP_vector_typeIjLj3EESA_SA_SA_SA_
    .private_segment_fixed_size: 0
    .sgpr_count:     48
    .sgpr_spill_count: 0
    .symbol:         _ZL10k_set_rowsIfi14__hip_bfloat16EvPKT_PKT0_PT1_llllllllllllll15HIP_vector_typeIjLj3EESA_SA_SA_SA_.kd
    .uniform_work_group_size: 1
    .uses_dynamic_stack: false
    .vgpr_count:     14
    .vgpr_spill_count: 0
    .wavefront_size: 64
  - .agpr_count:     0
    .args:
      - .actual_access:  read_only
        .address_space:  global
        .offset:         0
        .size:           8
        .value_kind:     global_buffer
      - .actual_access:  read_only
        .address_space:  global
        .offset:         8
        .size:           8
        .value_kind:     global_buffer
      - .actual_access:  write_only
        .address_space:  global
        .offset:         16
        .size:           8
        .value_kind:     global_buffer
      - .offset:         24
        .size:           8
        .value_kind:     by_value
      - .offset:         32
        .size:           8
        .value_kind:     by_value
      - .offset:         40
        .size:           8
        .value_kind:     by_value
      - .offset:         48
        .size:           8
        .value_kind:     by_value
      - .offset:         56
        .size:           8
        .value_kind:     by_value
      - .offset:         64
        .size:           8
        .value_kind:     by_value
      - .offset:         72
        .size:           8
        .value_kind:     by_value
      - .offset:         80
        .size:           8
        .value_kind:     by_value
      - .offset:         88
        .size:           8
        .value_kind:     by_value
      - .offset:         96
        .size:           8
        .value_kind:     by_value
      - .offset:         104
        .size:           8
        .value_kind:     by_value
      - .offset:         112
        .size:           8
        .value_kind:     by_value
      - .offset:         120
        .size:           8
        .value_kind:     by_value
      - .offset:         128
        .size:           8
        .value_kind:     by_value
      - .offset:         136
        .size:           12
        .value_kind:     by_value
      - .offset:         148
        .size:           12
        .value_kind:     by_value
      - .offset:         160
        .size:           12
        .value_kind:     by_value
      - .offset:         172
        .size:           12
        .value_kind:     by_value
      - .offset:         184
        .size:           12
        .value_kind:     by_value
      - .offset:         200
        .size:           4
        .value_kind:     hidden_block_count_x
      - .offset:         204
        .size:           4
        .value_kind:     hidden_block_count_y
      - .offset:         208
        .size:           4
        .value_kind:     hidden_block_count_z
      - .offset:         212
        .size:           2
        .value_kind:     hidden_group_size_x
      - .offset:         214
        .size:           2
        .value_kind:     hidden_group_size_y
      - .offset:         216
        .size:           2
        .value_kind:     hidden_group_size_z
      - .offset:         218
        .size:           2
        .value_kind:     hidden_remainder_x
      - .offset:         220
        .size:           2
        .value_kind:     hidden_remainder_y
      - .offset:         222
        .size:           2
        .value_kind:     hidden_remainder_z
      - .offset:         240
        .size:           8
        .value_kind:     hidden_global_offset_x
      - .offset:         248
        .size:           8
        .value_kind:     hidden_global_offset_y
      - .offset:         256
        .size:           8
        .value_kind:     hidden_global_offset_z
      - .offset:         264
        .size:           2
        .value_kind:     hidden_grid_dims
    .group_segment_fixed_size: 0
    .kernarg_segment_align: 8
    .kernarg_segment_size: 456
    .language:       OpenCL C
    .language_version:
      - 2
      - 0
    .max_flat_workgroup_size: 1024
    .name:           _ZL16k_set_rows_quantIi10block_q4_0Li32ETnPFvPKfPT0_EXadL_ZL23quantize_f32_q4_0_blockS2_PS0_EEEvS2_PKT_S4_llllllllllllll15HIP_vector_typeIjLj3EESC_SC_SC_SC_
    .private_segment_fixed_size: 0
    .sgpr_count:     44
    .sgpr_spill_count: 0
    .symbol:         _ZL16k_set_rows_quantIi10block_q4_0Li32ETnPFvPKfPT0_EXadL_ZL23quantize_f32_q4_0_blockS2_PS0_EEEvS2_PKT_S4_llllllllllllll15HIP_vector_typeIjLj3EESC_SC_SC_SC_.kd
    .uniform_work_group_size: 1
    .uses_dynamic_stack: false
    .vgpr_count:     41
    .vgpr_spill_count: 0
    .wavefront_size: 64
  - .agpr_count:     0
    .args:
      - .actual_access:  read_only
        .address_space:  global
        .offset:         0
        .size:           8
        .value_kind:     global_buffer
      - .actual_access:  read_only
        .address_space:  global
        .offset:         8
        .size:           8
        .value_kind:     global_buffer
      - .actual_access:  write_only
        .address_space:  global
        .offset:         16
        .size:           8
        .value_kind:     global_buffer
      - .offset:         24
        .size:           8
        .value_kind:     by_value
      - .offset:         32
        .size:           8
        .value_kind:     by_value
      - .offset:         40
        .size:           8
        .value_kind:     by_value
      - .offset:         48
        .size:           8
        .value_kind:     by_value
      - .offset:         56
        .size:           8
        .value_kind:     by_value
      - .offset:         64
        .size:           8
        .value_kind:     by_value
      - .offset:         72
        .size:           8
        .value_kind:     by_value
      - .offset:         80
        .size:           8
        .value_kind:     by_value
      - .offset:         88
        .size:           8
        .value_kind:     by_value
      - .offset:         96
        .size:           8
        .value_kind:     by_value
      - .offset:         104
        .size:           8
        .value_kind:     by_value
      - .offset:         112
        .size:           8
        .value_kind:     by_value
      - .offset:         120
        .size:           8
        .value_kind:     by_value
      - .offset:         128
        .size:           8
        .value_kind:     by_value
      - .offset:         136
        .size:           12
        .value_kind:     by_value
      - .offset:         148
        .size:           12
        .value_kind:     by_value
      - .offset:         160
        .size:           12
        .value_kind:     by_value
      - .offset:         172
        .size:           12
        .value_kind:     by_value
      - .offset:         184
        .size:           12
        .value_kind:     by_value
      - .offset:         200
        .size:           4
        .value_kind:     hidden_block_count_x
      - .offset:         204
        .size:           4
        .value_kind:     hidden_block_count_y
      - .offset:         208
        .size:           4
        .value_kind:     hidden_block_count_z
      - .offset:         212
        .size:           2
        .value_kind:     hidden_group_size_x
      - .offset:         214
        .size:           2
        .value_kind:     hidden_group_size_y
      - .offset:         216
        .size:           2
        .value_kind:     hidden_group_size_z
      - .offset:         218
        .size:           2
        .value_kind:     hidden_remainder_x
      - .offset:         220
        .size:           2
        .value_kind:     hidden_remainder_y
      - .offset:         222
        .size:           2
        .value_kind:     hidden_remainder_z
      - .offset:         240
        .size:           8
        .value_kind:     hidden_global_offset_x
      - .offset:         248
        .size:           8
        .value_kind:     hidden_global_offset_y
      - .offset:         256
        .size:           8
        .value_kind:     hidden_global_offset_z
      - .offset:         264
        .size:           2
        .value_kind:     hidden_grid_dims
    .group_segment_fixed_size: 0
    .kernarg_segment_align: 8
    .kernarg_segment_size: 456
    .language:       OpenCL C
    .language_version:
      - 2
      - 0
    .max_flat_workgroup_size: 1024
    .name:           _ZL16k_set_rows_quantIi10block_q4_1Li32ETnPFvPKfPT0_EXadL_ZL23quantize_f32_q4_1_blockS2_PS0_EEEvS2_PKT_S4_llllllllllllll15HIP_vector_typeIjLj3EESC_SC_SC_SC_
    .private_segment_fixed_size: 0
    .sgpr_count:     44
    .sgpr_spill_count: 0
    .symbol:         _ZL16k_set_rows_quantIi10block_q4_1Li32ETnPFvPKfPT0_EXadL_ZL23quantize_f32_q4_1_blockS2_PS0_EEEvS2_PKT_S4_llllllllllllll15HIP_vector_typeIjLj3EESC_SC_SC_SC_.kd
    .uniform_work_group_size: 1
    .uses_dynamic_stack: false
    .vgpr_count:     42
    .vgpr_spill_count: 0
    .wavefront_size: 64
  - .agpr_count:     0
    .args:
      - .actual_access:  read_only
        .address_space:  global
        .offset:         0
        .size:           8
        .value_kind:     global_buffer
      - .actual_access:  read_only
        .address_space:  global
        .offset:         8
        .size:           8
        .value_kind:     global_buffer
      - .actual_access:  write_only
        .address_space:  global
        .offset:         16
        .size:           8
        .value_kind:     global_buffer
      - .offset:         24
        .size:           8
        .value_kind:     by_value
      - .offset:         32
        .size:           8
        .value_kind:     by_value
      - .offset:         40
        .size:           8
        .value_kind:     by_value
      - .offset:         48
        .size:           8
        .value_kind:     by_value
      - .offset:         56
        .size:           8
        .value_kind:     by_value
      - .offset:         64
        .size:           8
        .value_kind:     by_value
      - .offset:         72
        .size:           8
        .value_kind:     by_value
      - .offset:         80
        .size:           8
        .value_kind:     by_value
      - .offset:         88
        .size:           8
        .value_kind:     by_value
      - .offset:         96
        .size:           8
        .value_kind:     by_value
      - .offset:         104
        .size:           8
        .value_kind:     by_value
      - .offset:         112
        .size:           8
        .value_kind:     by_value
      - .offset:         120
        .size:           8
        .value_kind:     by_value
      - .offset:         128
        .size:           8
        .value_kind:     by_value
      - .offset:         136
        .size:           12
        .value_kind:     by_value
      - .offset:         148
        .size:           12
        .value_kind:     by_value
      - .offset:         160
        .size:           12
        .value_kind:     by_value
      - .offset:         172
        .size:           12
        .value_kind:     by_value
      - .offset:         184
        .size:           12
        .value_kind:     by_value
      - .offset:         200
        .size:           4
        .value_kind:     hidden_block_count_x
      - .offset:         204
        .size:           4
        .value_kind:     hidden_block_count_y
      - .offset:         208
        .size:           4
        .value_kind:     hidden_block_count_z
      - .offset:         212
        .size:           2
        .value_kind:     hidden_group_size_x
      - .offset:         214
        .size:           2
        .value_kind:     hidden_group_size_y
      - .offset:         216
        .size:           2
        .value_kind:     hidden_group_size_z
      - .offset:         218
        .size:           2
        .value_kind:     hidden_remainder_x
      - .offset:         220
        .size:           2
        .value_kind:     hidden_remainder_y
      - .offset:         222
        .size:           2
        .value_kind:     hidden_remainder_z
      - .offset:         240
        .size:           8
        .value_kind:     hidden_global_offset_x
      - .offset:         248
        .size:           8
        .value_kind:     hidden_global_offset_y
      - .offset:         256
        .size:           8
        .value_kind:     hidden_global_offset_z
      - .offset:         264
        .size:           2
        .value_kind:     hidden_grid_dims
    .group_segment_fixed_size: 0
    .kernarg_segment_align: 8
    .kernarg_segment_size: 456
    .language:       OpenCL C
    .language_version:
      - 2
      - 0
    .max_flat_workgroup_size: 1024
    .name:           _ZL16k_set_rows_quantIi10block_q5_0Li32ETnPFvPKfPT0_EXadL_ZL23quantize_f32_q5_0_blockS2_PS0_EEEvS2_PKT_S4_llllllllllllll15HIP_vector_typeIjLj3EESC_SC_SC_SC_
    .private_segment_fixed_size: 0
    .sgpr_count:     44
    .sgpr_spill_count: 0
    .symbol:         _ZL16k_set_rows_quantIi10block_q5_0Li32ETnPFvPKfPT0_EXadL_ZL23quantize_f32_q5_0_blockS2_PS0_EEEvS2_PKT_S4_llllllllllllll15HIP_vector_typeIjLj3EESC_SC_SC_SC_.kd
    .uniform_work_group_size: 1
    .uses_dynamic_stack: false
    .vgpr_count:     49
    .vgpr_spill_count: 0
    .wavefront_size: 64
  - .agpr_count:     0
    .args:
      - .actual_access:  read_only
        .address_space:  global
        .offset:         0
        .size:           8
        .value_kind:     global_buffer
      - .actual_access:  read_only
        .address_space:  global
        .offset:         8
        .size:           8
        .value_kind:     global_buffer
      - .actual_access:  write_only
        .address_space:  global
        .offset:         16
        .size:           8
        .value_kind:     global_buffer
      - .offset:         24
        .size:           8
        .value_kind:     by_value
      - .offset:         32
        .size:           8
        .value_kind:     by_value
      - .offset:         40
        .size:           8
        .value_kind:     by_value
      - .offset:         48
        .size:           8
        .value_kind:     by_value
      - .offset:         56
        .size:           8
        .value_kind:     by_value
      - .offset:         64
        .size:           8
        .value_kind:     by_value
      - .offset:         72
        .size:           8
        .value_kind:     by_value
      - .offset:         80
        .size:           8
        .value_kind:     by_value
      - .offset:         88
        .size:           8
        .value_kind:     by_value
      - .offset:         96
        .size:           8
        .value_kind:     by_value
      - .offset:         104
        .size:           8
        .value_kind:     by_value
      - .offset:         112
        .size:           8
        .value_kind:     by_value
      - .offset:         120
        .size:           8
        .value_kind:     by_value
      - .offset:         128
        .size:           8
        .value_kind:     by_value
      - .offset:         136
        .size:           12
        .value_kind:     by_value
      - .offset:         148
        .size:           12
        .value_kind:     by_value
      - .offset:         160
        .size:           12
        .value_kind:     by_value
      - .offset:         172
        .size:           12
        .value_kind:     by_value
      - .offset:         184
        .size:           12
        .value_kind:     by_value
      - .offset:         200
        .size:           4
        .value_kind:     hidden_block_count_x
      - .offset:         204
        .size:           4
        .value_kind:     hidden_block_count_y
      - .offset:         208
        .size:           4
        .value_kind:     hidden_block_count_z
      - .offset:         212
        .size:           2
        .value_kind:     hidden_group_size_x
      - .offset:         214
        .size:           2
        .value_kind:     hidden_group_size_y
      - .offset:         216
        .size:           2
        .value_kind:     hidden_group_size_z
      - .offset:         218
        .size:           2
        .value_kind:     hidden_remainder_x
      - .offset:         220
        .size:           2
        .value_kind:     hidden_remainder_y
      - .offset:         222
        .size:           2
        .value_kind:     hidden_remainder_z
      - .offset:         240
        .size:           8
        .value_kind:     hidden_global_offset_x
      - .offset:         248
        .size:           8
        .value_kind:     hidden_global_offset_y
      - .offset:         256
        .size:           8
        .value_kind:     hidden_global_offset_z
      - .offset:         264
        .size:           2
        .value_kind:     hidden_grid_dims
    .group_segment_fixed_size: 0
    .kernarg_segment_align: 8
    .kernarg_segment_size: 456
    .language:       OpenCL C
    .language_version:
      - 2
      - 0
    .max_flat_workgroup_size: 1024
    .name:           _ZL16k_set_rows_quantIi10block_q5_1Li32ETnPFvPKfPT0_EXadL_ZL23quantize_f32_q5_1_blockS2_PS0_EEEvS2_PKT_S4_llllllllllllll15HIP_vector_typeIjLj3EESC_SC_SC_SC_
    .private_segment_fixed_size: 0
    .sgpr_count:     44
    .sgpr_spill_count: 0
    .symbol:         _ZL16k_set_rows_quantIi10block_q5_1Li32ETnPFvPKfPT0_EXadL_ZL23quantize_f32_q5_1_blockS2_PS0_EEEvS2_PKT_S4_llllllllllllll15HIP_vector_typeIjLj3EESC_SC_SC_SC_.kd
    .uniform_work_group_size: 1
    .uses_dynamic_stack: false
    .vgpr_count:     46
    .vgpr_spill_count: 0
    .wavefront_size: 64
  - .agpr_count:     0
    .args:
      - .actual_access:  read_only
        .address_space:  global
        .offset:         0
        .size:           8
        .value_kind:     global_buffer
      - .actual_access:  read_only
        .address_space:  global
        .offset:         8
        .size:           8
        .value_kind:     global_buffer
      - .actual_access:  write_only
        .address_space:  global
        .offset:         16
        .size:           8
        .value_kind:     global_buffer
      - .offset:         24
        .size:           8
        .value_kind:     by_value
      - .offset:         32
        .size:           8
        .value_kind:     by_value
      - .offset:         40
        .size:           8
        .value_kind:     by_value
      - .offset:         48
        .size:           8
        .value_kind:     by_value
      - .offset:         56
        .size:           8
        .value_kind:     by_value
      - .offset:         64
        .size:           8
        .value_kind:     by_value
      - .offset:         72
        .size:           8
        .value_kind:     by_value
      - .offset:         80
        .size:           8
        .value_kind:     by_value
      - .offset:         88
        .size:           8
        .value_kind:     by_value
      - .offset:         96
        .size:           8
        .value_kind:     by_value
      - .offset:         104
        .size:           8
        .value_kind:     by_value
      - .offset:         112
        .size:           8
        .value_kind:     by_value
      - .offset:         120
        .size:           8
        .value_kind:     by_value
      - .offset:         128
        .size:           8
        .value_kind:     by_value
      - .offset:         136
        .size:           12
        .value_kind:     by_value
      - .offset:         148
        .size:           12
        .value_kind:     by_value
      - .offset:         160
        .size:           12
        .value_kind:     by_value
      - .offset:         172
        .size:           12
        .value_kind:     by_value
      - .offset:         184
        .size:           12
        .value_kind:     by_value
      - .offset:         200
        .size:           4
        .value_kind:     hidden_block_count_x
      - .offset:         204
        .size:           4
        .value_kind:     hidden_block_count_y
      - .offset:         208
        .size:           4
        .value_kind:     hidden_block_count_z
      - .offset:         212
        .size:           2
        .value_kind:     hidden_group_size_x
      - .offset:         214
        .size:           2
        .value_kind:     hidden_group_size_y
      - .offset:         216
        .size:           2
        .value_kind:     hidden_group_size_z
      - .offset:         218
        .size:           2
        .value_kind:     hidden_remainder_x
      - .offset:         220
        .size:           2
        .value_kind:     hidden_remainder_y
      - .offset:         222
        .size:           2
        .value_kind:     hidden_remainder_z
      - .offset:         240
        .size:           8
        .value_kind:     hidden_global_offset_x
      - .offset:         248
        .size:           8
        .value_kind:     hidden_global_offset_y
      - .offset:         256
        .size:           8
        .value_kind:     hidden_global_offset_z
      - .offset:         264
        .size:           2
        .value_kind:     hidden_grid_dims
    .group_segment_fixed_size: 0
    .kernarg_segment_align: 8
    .kernarg_segment_size: 456
    .language:       OpenCL C
    .language_version:
      - 2
      - 0
    .max_flat_workgroup_size: 1024
    .name:           _ZL16k_set_rows_quantIi10block_q8_0Li32ETnPFvPKfPT0_EXadL_ZL23quantize_f32_q8_0_blockS2_PS0_EEEvS2_PKT_S4_llllllllllllll15HIP_vector_typeIjLj3EESC_SC_SC_SC_
    .private_segment_fixed_size: 0
    .sgpr_count:     44
    .sgpr_spill_count: 0
    .symbol:         _ZL16k_set_rows_quantIi10block_q8_0Li32ETnPFvPKfPT0_EXadL_ZL23quantize_f32_q8_0_blockS2_PS0_EEEvS2_PKT_S4_llllllllllllll15HIP_vector_typeIjLj3EESC_SC_SC_SC_.kd
    .uniform_work_group_size: 1
    .uses_dynamic_stack: false
    .vgpr_count:     42
    .vgpr_spill_count: 0
    .wavefront_size: 64
  - .agpr_count:     0
    .args:
      - .actual_access:  read_only
        .address_space:  global
        .offset:         0
        .size:           8
        .value_kind:     global_buffer
      - .actual_access:  read_only
        .address_space:  global
        .offset:         8
        .size:           8
        .value_kind:     global_buffer
      - .actual_access:  write_only
        .address_space:  global
        .offset:         16
        .size:           8
        .value_kind:     global_buffer
      - .offset:         24
        .size:           8
        .value_kind:     by_value
      - .offset:         32
        .size:           8
        .value_kind:     by_value
      - .offset:         40
        .size:           8
        .value_kind:     by_value
      - .offset:         48
        .size:           8
        .value_kind:     by_value
      - .offset:         56
        .size:           8
        .value_kind:     by_value
      - .offset:         64
        .size:           8
        .value_kind:     by_value
      - .offset:         72
        .size:           8
        .value_kind:     by_value
      - .offset:         80
        .size:           8
        .value_kind:     by_value
      - .offset:         88
        .size:           8
        .value_kind:     by_value
      - .offset:         96
        .size:           8
        .value_kind:     by_value
      - .offset:         104
        .size:           8
        .value_kind:     by_value
      - .offset:         112
        .size:           8
        .value_kind:     by_value
      - .offset:         120
        .size:           8
        .value_kind:     by_value
      - .offset:         128
        .size:           8
        .value_kind:     by_value
      - .offset:         136
        .size:           12
        .value_kind:     by_value
      - .offset:         148
        .size:           12
        .value_kind:     by_value
      - .offset:         160
        .size:           12
        .value_kind:     by_value
      - .offset:         172
        .size:           12
        .value_kind:     by_value
      - .offset:         184
        .size:           12
        .value_kind:     by_value
      - .offset:         200
        .size:           4
        .value_kind:     hidden_block_count_x
      - .offset:         204
        .size:           4
        .value_kind:     hidden_block_count_y
      - .offset:         208
        .size:           4
        .value_kind:     hidden_block_count_z
      - .offset:         212
        .size:           2
        .value_kind:     hidden_group_size_x
      - .offset:         214
        .size:           2
        .value_kind:     hidden_group_size_y
      - .offset:         216
        .size:           2
        .value_kind:     hidden_group_size_z
      - .offset:         218
        .size:           2
        .value_kind:     hidden_remainder_x
      - .offset:         220
        .size:           2
        .value_kind:     hidden_remainder_y
      - .offset:         222
        .size:           2
        .value_kind:     hidden_remainder_z
      - .offset:         240
        .size:           8
        .value_kind:     hidden_global_offset_x
      - .offset:         248
        .size:           8
        .value_kind:     hidden_global_offset_y
      - .offset:         256
        .size:           8
        .value_kind:     hidden_global_offset_z
      - .offset:         264
        .size:           2
        .value_kind:     hidden_grid_dims
    .group_segment_fixed_size: 0
    .kernarg_segment_align: 8
    .kernarg_segment_size: 456
    .language:       OpenCL C
    .language_version:
      - 2
      - 0
    .max_flat_workgroup_size: 1024
    .name:           _ZL16k_set_rows_quantIi12block_iq4_nlLi32ETnPFvPKfPT0_EXadL_ZL25quantize_f32_iq4_nl_blockS2_PS0_EEEvS2_PKT_S4_llllllllllllll15HIP_vector_typeIjLj3EESC_SC_SC_SC_
    .private_segment_fixed_size: 0
    .sgpr_count:     44
    .sgpr_spill_count: 0
    .symbol:         _ZL16k_set_rows_quantIi12block_iq4_nlLi32ETnPFvPKfPT0_EXadL_ZL25quantize_f32_iq4_nl_blockS2_PS0_EEEvS2_PKT_S4_llllllllllllll15HIP_vector_typeIjLj3EESC_SC_SC_SC_.kd
    .uniform_work_group_size: 1
    .uses_dynamic_stack: false
    .vgpr_count:     42
    .vgpr_spill_count: 0
    .wavefront_size: 64
amdhsa.target:   amdgcn-amd-amdhsa--gfx90a
amdhsa.version:
  - 1
  - 2
...

	.end_amdgpu_metadata
